;; amdgpu-corpus repo=llvm/llvm-project kind=harvested arch=n/a opt=n/a
// NOTE: Assertions have been autogenerated by utils/update_mc_test_checks.py UTC_ARGS: --version 5
// RUN: llvm-mc -triple=amdgcn -mcpu=gfx1250 -show-encoding < %s | FileCheck --check-prefix=GFX1250 %s
// RUN: not llvm-mc -triple=amdgcn -mcpu=gfx1200 -filetype=null %s 2>&1 | FileCheck --check-prefix=GFX12-ERR --implicit-check-not=error: --strict-whitespace %s

v_pk_fma_f32 v[8:9], v[0:1], v[2:3], v[4:5]
// GFX12-ERR: :[[@LINE-1]]:1: error: instruction not supported on this GPU (gfx1200): v_pk_fma_f32
// GFX1250: v_pk_fma_f32 v[8:9], v[0:1], v[2:3], v[4:5] ; encoding: [0x08,0x40,0x1f,0xcc,0x00,0x05,0x12,0x1c]

v_pk_fma_f32 v[8:9], v[0:1], v[2:3], v[4:5] op_sel_hi:[0,0,0]
// GFX12-ERR: :[[@LINE-1]]:1: error: instruction not supported on this GPU (gfx1200): v_pk_fma_f32
// GFX1250: v_pk_fma_f32 v[8:9], v[0:1], v[2:3], v[4:5] op_sel_hi:[0,0,0] ; encoding: [0x08,0x00,0x1f,0xcc,0x00,0x05,0x12,0x04]

v_pk_fma_f32 v[8:9], v[0:1], v[2:3], v[4:5] op_sel:[0,0,1] op_sel_hi:[0,0,1]
// GFX12-ERR: :[[@LINE-1]]:1: error: instruction not supported on this GPU (gfx1200): v_pk_fma_f32
// GFX1250: v_pk_fma_f32 v[8:9], v[0:1], v[2:3], v[4:5] op_sel:[0,0,1] op_sel_hi:[0,0,1] ; encoding: [0x08,0x60,0x1f,0xcc,0x00,0x05,0x12,0x04]

v_pk_fma_f32 v[8:9], v[0:1], v[2:3], v[4:5] neg_lo:[1,1,1]
// GFX12-ERR: :[[@LINE-1]]:1: error: instruction not supported on this GPU (gfx1200): v_pk_fma_f32
// GFX1250: v_pk_fma_f32 v[8:9], v[0:1], v[2:3], v[4:5] neg_lo:[1,1,1] ; encoding: [0x08,0x40,0x1f,0xcc,0x00,0x05,0x12,0xfc]

v_pk_fma_f32 v[8:9], v[0:1], v[2:3], v[4:5] neg_hi:[1,1,1]
// GFX12-ERR: :[[@LINE-1]]:1: error: instruction not supported on this GPU (gfx1200): v_pk_fma_f32
// GFX1250: v_pk_fma_f32 v[8:9], v[0:1], v[2:3], v[4:5] neg_hi:[1,1,1] ; encoding: [0x08,0x47,0x1f,0xcc,0x00,0x05,0x12,0x1c]

v_pk_fma_f32 v[8:9], v[0:1], v[2:3], v[4:5] neg_lo:[1,1,1] neg_hi:[1,1,1]
// GFX12-ERR: :[[@LINE-1]]:1: error: instruction not supported on this GPU (gfx1200): v_pk_fma_f32
// GFX1250: v_pk_fma_f32 v[8:9], v[0:1], v[2:3], v[4:5] neg_lo:[1,1,1] neg_hi:[1,1,1] ; encoding: [0x08,0x47,0x1f,0xcc,0x00,0x05,0x12,0xfc]

v_pk_fma_f32 v[8:9], v[0:1], v[2:3], v[4:5] neg_lo:[1,0,0]
// GFX12-ERR: :[[@LINE-1]]:1: error: instruction not supported on this GPU (gfx1200): v_pk_fma_f32
// GFX1250: v_pk_fma_f32 v[8:9], v[0:1], v[2:3], v[4:5] neg_lo:[1,0,0] ; encoding: [0x08,0x40,0x1f,0xcc,0x00,0x05,0x12,0x3c]

v_pk_fma_f32 v[8:9], v[0:1], v[2:3], v[4:5] neg_lo:[0,1,0]
// GFX12-ERR: :[[@LINE-1]]:1: error: instruction not supported on this GPU (gfx1200): v_pk_fma_f32
// GFX1250: v_pk_fma_f32 v[8:9], v[0:1], v[2:3], v[4:5] neg_lo:[0,1,0] ; encoding: [0x08,0x40,0x1f,0xcc,0x00,0x05,0x12,0x5c]
	;; [unrolled: 4-line block ×3, first 2 shown]

v_pk_fma_f32 v[8:9], v[0:1], v[2:3], v[4:5] neg_hi:[1,0,0]
// GFX12-ERR: :[[@LINE-1]]:1: error: instruction not supported on this GPU (gfx1200): v_pk_fma_f32
// GFX1250: v_pk_fma_f32 v[8:9], v[0:1], v[2:3], v[4:5] neg_hi:[1,0,0] ; encoding: [0x08,0x41,0x1f,0xcc,0x00,0x05,0x12,0x1c]

v_pk_fma_f32 v[8:9], v[0:1], v[2:3], v[4:5] neg_hi:[0,1,0]
// GFX12-ERR: :[[@LINE-1]]:1: error: instruction not supported on this GPU (gfx1200): v_pk_fma_f32
// GFX1250: v_pk_fma_f32 v[8:9], v[0:1], v[2:3], v[4:5] neg_hi:[0,1,0] ; encoding: [0x08,0x42,0x1f,0xcc,0x00,0x05,0x12,0x1c]
	;; [unrolled: 4-line block ×3, first 2 shown]

v_pk_fma_f32 v[8:9], v[0:1], v[2:3], v[4:5] clamp
// GFX12-ERR: :[[@LINE-1]]:1: error: instruction not supported on this GPU (gfx1200): v_pk_fma_f32
// GFX1250: v_pk_fma_f32 v[8:9], v[0:1], v[2:3], v[4:5] clamp ; encoding: [0x08,0xc0,0x1f,0xcc,0x00,0x05,0x12,0x1c]

v_pk_fma_f32 v[0:1], v[4:5], v[8:9], v[16:17]
// GFX12-ERR: :[[@LINE-1]]:1: error: instruction not supported on this GPU (gfx1200): v_pk_fma_f32
// GFX1250: v_pk_fma_f32 v[0:1], v[4:5], v[8:9], v[16:17] ; encoding: [0x00,0x40,0x1f,0xcc,0x04,0x11,0x42,0x1c]

v_pk_fma_f32 v[0:1], v[2:3], v[4:5], 1.0
// GFX12-ERR: :[[@LINE-1]]:1: error: instruction not supported on this GPU (gfx1200): v_pk_fma_f32
// GFX1250: v_pk_fma_f32 v[0:1], v[2:3], v[4:5], 1.0 ; encoding: [0x00,0x40,0x1f,0xcc,0x02,0x09,0xca,0x1b]

v_pk_fma_f32 v[0:1], v[2:3], v[4:5], s[6:7] op_sel_hi:[1,1,0]
// GFX12-ERR: :[[@LINE-1]]:1: error: instruction not supported on this GPU (gfx1200): v_pk_fma_f32
// GFX1250: v_pk_fma_f32 v[0:1], v[2:3], v[4:5], s[6:7] op_sel_hi:[1,1,0] ; encoding: [0x00,0x00,0x1f,0xcc,0x02,0x09,0x1a,0x18]

v_pk_fma_f32 v[0:1], v[2:3], s[4:5], v[6:7] op_sel:[1,0,1] op_sel_hi:[1,0,0]
// GFX12-ERR: :[[@LINE-1]]:1: error: instruction not supported on this GPU (gfx1200): v_pk_fma_f32
// GFX1250: v_pk_fma_f32 v[0:1], v[2:3], s[4:5], v[6:7] op_sel:[1,0,1] op_sel_hi:[1,0,0] ; encoding: [0x00,0x28,0x1f,0xcc,0x02,0x09,0x18,0x0c]

v_pk_fma_f32 v[0:1], s[2:3], v[4:5], v[6:7] op_sel_hi:[0,1,1]
// GFX12-ERR: :[[@LINE-1]]:1: error: instruction not supported on this GPU (gfx1200): v_pk_fma_f32
// GFX1250: v_pk_fma_f32 v[0:1], s[2:3], v[4:5], v[6:7] op_sel_hi:[0,1,1] ; encoding: [0x00,0x40,0x1f,0xcc,0x02,0x08,0x1a,0x14]

v_pk_mul_f32 v[254:255], v[8:9], v[16:17]
// GFX12-ERR: :[[@LINE-1]]:1: error: instruction not supported on this GPU (gfx1200): v_pk_mul_f32
// GFX1250: v_pk_mul_f32 v[254:255], v[8:9], v[16:17] ; encoding: [0xfe,0x40,0x28,0xcc,0x08,0x21,0x02,0x1a]

v_pk_mul_f32 v[4:5], v[254:255], v[16:17]
// GFX12-ERR: :[[@LINE-1]]:1: error: instruction not supported on this GPU (gfx1200): v_pk_mul_f32
// GFX1250: v_pk_mul_f32 v[4:5], v[254:255], v[16:17] ; encoding: [0x04,0x40,0x28,0xcc,0xfe,0x21,0x02,0x1a]

v_pk_mul_f32 v[4:5], v[2:3], v[16:17]
// GFX12-ERR: :[[@LINE-1]]:1: error: instruction not supported on this GPU (gfx1200): v_pk_mul_f32
// GFX1250: v_pk_mul_f32 v[4:5], v[2:3], v[16:17]   ; encoding: [0x04,0x40,0x28,0xcc,0x02,0x21,0x02,0x1a]

v_pk_mul_f32 v[4:5], v[100:101], v[16:17]
// GFX12-ERR: :[[@LINE-1]]:1: error: instruction not supported on this GPU (gfx1200): v_pk_mul_f32
// GFX1250: v_pk_mul_f32 v[4:5], v[100:101], v[16:17] ; encoding: [0x04,0x40,0x28,0xcc,0x64,0x21,0x02,0x1a]

v_pk_mul_f32 v[4:5], v[8:9], v[254:255]
// GFX12-ERR: :[[@LINE-1]]:1: error: instruction not supported on this GPU (gfx1200): v_pk_mul_f32
// GFX1250: v_pk_mul_f32 v[4:5], v[8:9], v[254:255] ; encoding: [0x04,0x40,0x28,0xcc,0x08,0xfd,0x03,0x1a]

v_pk_mul_f32 v[4:5], v[8:9], v[2:3]
// GFX12-ERR: :[[@LINE-1]]:1: error: instruction not supported on this GPU (gfx1200): v_pk_mul_f32
// GFX1250: v_pk_mul_f32 v[4:5], v[8:9], v[2:3]     ; encoding: [0x04,0x40,0x28,0xcc,0x08,0x05,0x02,0x1a]

v_pk_mul_f32 v[4:5], v[8:9], v[100:101]
// GFX12-ERR: :[[@LINE-1]]:1: error: instruction not supported on this GPU (gfx1200): v_pk_mul_f32
// GFX1250: v_pk_mul_f32 v[4:5], v[8:9], v[100:101] ; encoding: [0x04,0x40,0x28,0xcc,0x08,0xc9,0x02,0x1a]

v_pk_mul_f32 v[4:5], v[8:9], v[16:17]
// GFX12-ERR: :[[@LINE-1]]:1: error: instruction not supported on this GPU (gfx1200): v_pk_mul_f32
// GFX1250: v_pk_mul_f32 v[4:5], v[8:9], v[16:17]   ; encoding: [0x04,0x40,0x28,0xcc,0x08,0x21,0x02,0x1a]

v_pk_mul_f32 v[4:5], v[8:9], v[16:17] op_sel:[1,0]
// GFX12-ERR: :[[@LINE-1]]:1: error: instruction not supported on this GPU (gfx1200): v_pk_mul_f32
// GFX1250: v_pk_mul_f32 v[4:5], v[8:9], v[16:17] op_sel:[1,0] ; encoding: [0x04,0x48,0x28,0xcc,0x08,0x21,0x02,0x1a]

v_pk_mul_f32 v[4:5], v[8:9], v[16:17] op_sel:[0,1]
// GFX12-ERR: :[[@LINE-1]]:1: error: instruction not supported on this GPU (gfx1200): v_pk_mul_f32
// GFX1250: v_pk_mul_f32 v[4:5], v[8:9], v[16:17] op_sel:[0,1] ; encoding: [0x04,0x50,0x28,0xcc,0x08,0x21,0x02,0x1a]
	;; [unrolled: 4-line block ×3, first 2 shown]

v_pk_mul_f32 v[4:5], v[8:9], v[16:17]
// GFX12-ERR: :[[@LINE-1]]:1: error: instruction not supported on this GPU (gfx1200): v_pk_mul_f32
// GFX1250: v_pk_mul_f32 v[4:5], v[8:9], v[16:17]   ; encoding: [0x04,0x40,0x28,0xcc,0x08,0x21,0x02,0x1a]

v_pk_mul_f32 v[4:5], v[8:9], v[16:17] op_sel_hi:[0,0]
// GFX12-ERR: :[[@LINE-1]]:1: error: instruction not supported on this GPU (gfx1200): v_pk_mul_f32
// GFX1250: v_pk_mul_f32 v[4:5], v[8:9], v[16:17] op_sel_hi:[0,0] ; encoding: [0x04,0x40,0x28,0xcc,0x08,0x21,0x02,0x02]

v_pk_mul_f32 v[4:5], v[8:9], v[16:17] op_sel_hi:[1,0]
// GFX12-ERR: :[[@LINE-1]]:1: error: instruction not supported on this GPU (gfx1200): v_pk_mul_f32
// GFX1250: v_pk_mul_f32 v[4:5], v[8:9], v[16:17] op_sel_hi:[1,0] ; encoding: [0x04,0x40,0x28,0xcc,0x08,0x21,0x02,0x0a]

v_pk_mul_f32 v[4:5], v[8:9], v[16:17] op_sel_hi:[0,1]
// GFX12-ERR: :[[@LINE-1]]:1: error: instruction not supported on this GPU (gfx1200): v_pk_mul_f32
// GFX1250: v_pk_mul_f32 v[4:5], v[8:9], v[16:17] op_sel_hi:[0,1] ; encoding: [0x04,0x40,0x28,0xcc,0x08,0x21,0x02,0x12]

v_pk_mul_f32 v[4:5], v[8:9], v[16:17] neg_lo:[1,0]
// GFX12-ERR: :[[@LINE-1]]:1: error: instruction not supported on this GPU (gfx1200): v_pk_mul_f32
// GFX1250: v_pk_mul_f32 v[4:5], v[8:9], v[16:17] neg_lo:[1,0] ; encoding: [0x04,0x40,0x28,0xcc,0x08,0x21,0x02,0x3a]

v_pk_mul_f32 v[4:5], v[8:9], v[16:17] neg_lo:[0,1]
// GFX12-ERR: :[[@LINE-1]]:1: error: instruction not supported on this GPU (gfx1200): v_pk_mul_f32
// GFX1250: v_pk_mul_f32 v[4:5], v[8:9], v[16:17] neg_lo:[0,1] ; encoding: [0x04,0x40,0x28,0xcc,0x08,0x21,0x02,0x5a]

v_pk_mul_f32 v[4:5], v[8:9], v[16:17] neg_lo:[1,1]
// GFX12-ERR: :[[@LINE-1]]:1: error: instruction not supported on this GPU (gfx1200): v_pk_mul_f32
// GFX1250: v_pk_mul_f32 v[4:5], v[8:9], v[16:17] neg_lo:[1,1] ; encoding: [0x04,0x40,0x28,0xcc,0x08,0x21,0x02,0x7a]

v_pk_mul_f32 v[4:5], v[8:9], v[16:17] neg_hi:[1,0]
// GFX12-ERR: :[[@LINE-1]]:1: error: instruction not supported on this GPU (gfx1200): v_pk_mul_f32
// GFX1250: v_pk_mul_f32 v[4:5], v[8:9], v[16:17] neg_hi:[1,0] ; encoding: [0x04,0x41,0x28,0xcc,0x08,0x21,0x02,0x1a]

v_pk_mul_f32 v[4:5], v[8:9], v[16:17] neg_hi:[0,1]
// GFX12-ERR: :[[@LINE-1]]:1: error: instruction not supported on this GPU (gfx1200): v_pk_mul_f32
// GFX1250: v_pk_mul_f32 v[4:5], v[8:9], v[16:17] neg_hi:[0,1] ; encoding: [0x04,0x42,0x28,0xcc,0x08,0x21,0x02,0x1a]
	;; [unrolled: 4-line block ×3, first 2 shown]

v_pk_mul_f32 v[4:5], v[8:9], v[16:17] clamp
// GFX12-ERR: :[[@LINE-1]]:1: error: instruction not supported on this GPU (gfx1200): v_pk_mul_f32
// GFX1250: v_pk_mul_f32 v[4:5], v[8:9], v[16:17] clamp ; encoding: [0x04,0xc0,0x28,0xcc,0x08,0x21,0x02,0x1a]

v_pk_mul_f32 v[0:1], v[2:3], 1.0
// GFX12-ERR: :[[@LINE-1]]:1: error: instruction not supported on this GPU (gfx1200): v_pk_mul_f32
// GFX1250: v_pk_mul_f32 v[0:1], v[2:3], 1.0        ; encoding: [0x00,0x40,0x28,0xcc,0x02,0xe5,0x01,0x1a]

v_pk_mul_f32 v[0:1], v[2:3], s[2:3] op_sel:[1,0] op_sel_hi:[0,0]
// GFX12-ERR: :[[@LINE-1]]:1: error: instruction not supported on this GPU (gfx1200): v_pk_mul_f32
// GFX1250: v_pk_mul_f32 v[0:1], v[2:3], s[2:3] op_sel:[1,0] op_sel_hi:[0,0] ; encoding: [0x00,0x48,0x28,0xcc,0x02,0x05,0x00,0x02]

v_pk_mul_f32 v[0:1], s[2:3], v[2:3] op_sel:[0,1] op_sel_hi:[0,1]
// GFX12-ERR: :[[@LINE-1]]:1: error: instruction not supported on this GPU (gfx1200): v_pk_mul_f32
// GFX1250: v_pk_mul_f32 v[0:1], s[2:3], v[2:3] op_sel:[0,1] op_sel_hi:[0,1] ; encoding: [0x00,0x50,0x28,0xcc,0x02,0x04,0x02,0x12]

v_pk_add_f32 v[254:255], v[8:9], v[16:17]
// GFX12-ERR: :[[@LINE-1]]:1: error: instruction not supported on this GPU (gfx1200): v_pk_add_f32
// GFX1250: v_pk_add_f32 v[254:255], v[8:9], v[16:17] ; encoding: [0xfe,0x40,0x29,0xcc,0x08,0x21,0x02,0x1a]

v_pk_add_f32 v[4:5], v[254:255], v[16:17]
// GFX12-ERR: :[[@LINE-1]]:1: error: instruction not supported on this GPU (gfx1200): v_pk_add_f32
// GFX1250: v_pk_add_f32 v[4:5], v[254:255], v[16:17] ; encoding: [0x04,0x40,0x29,0xcc,0xfe,0x21,0x02,0x1a]

v_pk_add_f32 v[4:5], v[2:3], v[16:17]
// GFX12-ERR: :[[@LINE-1]]:1: error: instruction not supported on this GPU (gfx1200): v_pk_add_f32
// GFX1250: v_pk_add_f32 v[4:5], v[2:3], v[16:17]   ; encoding: [0x04,0x40,0x29,0xcc,0x02,0x21,0x02,0x1a]

v_pk_add_f32 v[4:5], v[100:101], v[16:17]
// GFX12-ERR: :[[@LINE-1]]:1: error: instruction not supported on this GPU (gfx1200): v_pk_add_f32
// GFX1250: v_pk_add_f32 v[4:5], v[100:101], v[16:17] ; encoding: [0x04,0x40,0x29,0xcc,0x64,0x21,0x02,0x1a]

v_pk_add_f32 v[4:5], v[8:9], v[254:255]
// GFX12-ERR: :[[@LINE-1]]:1: error: instruction not supported on this GPU (gfx1200): v_pk_add_f32
// GFX1250: v_pk_add_f32 v[4:5], v[8:9], v[254:255] ; encoding: [0x04,0x40,0x29,0xcc,0x08,0xfd,0x03,0x1a]

v_pk_add_f32 v[4:5], v[8:9], v[2:3]
// GFX12-ERR: :[[@LINE-1]]:1: error: instruction not supported on this GPU (gfx1200): v_pk_add_f32
// GFX1250: v_pk_add_f32 v[4:5], v[8:9], v[2:3]     ; encoding: [0x04,0x40,0x29,0xcc,0x08,0x05,0x02,0x1a]

v_pk_add_f32 v[4:5], v[8:9], v[100:101]
// GFX12-ERR: :[[@LINE-1]]:1: error: instruction not supported on this GPU (gfx1200): v_pk_add_f32
// GFX1250: v_pk_add_f32 v[4:5], v[8:9], v[100:101] ; encoding: [0x04,0x40,0x29,0xcc,0x08,0xc9,0x02,0x1a]

v_pk_add_f32 v[4:5], v[8:9], v[16:17]
// GFX12-ERR: :[[@LINE-1]]:1: error: instruction not supported on this GPU (gfx1200): v_pk_add_f32
// GFX1250: v_pk_add_f32 v[4:5], v[8:9], v[16:17]   ; encoding: [0x04,0x40,0x29,0xcc,0x08,0x21,0x02,0x1a]

v_pk_add_f32 v[4:5], v[8:9], v[16:17] op_sel:[1,0]
// GFX12-ERR: :[[@LINE-1]]:1: error: instruction not supported on this GPU (gfx1200): v_pk_add_f32
// GFX1250: v_pk_add_f32 v[4:5], v[8:9], v[16:17] op_sel:[1,0] ; encoding: [0x04,0x48,0x29,0xcc,0x08,0x21,0x02,0x1a]

v_pk_add_f32 v[4:5], v[8:9], v[16:17] op_sel:[0,1]
// GFX12-ERR: :[[@LINE-1]]:1: error: instruction not supported on this GPU (gfx1200): v_pk_add_f32
// GFX1250: v_pk_add_f32 v[4:5], v[8:9], v[16:17] op_sel:[0,1] ; encoding: [0x04,0x50,0x29,0xcc,0x08,0x21,0x02,0x1a]
	;; [unrolled: 4-line block ×3, first 2 shown]

v_pk_add_f32 v[4:5], v[8:9], v[16:17]
// GFX12-ERR: :[[@LINE-1]]:1: error: instruction not supported on this GPU (gfx1200): v_pk_add_f32
// GFX1250: v_pk_add_f32 v[4:5], v[8:9], v[16:17]   ; encoding: [0x04,0x40,0x29,0xcc,0x08,0x21,0x02,0x1a]

v_pk_add_f32 v[4:5], v[8:9], v[16:17] op_sel_hi:[0,0]
// GFX12-ERR: :[[@LINE-1]]:1: error: instruction not supported on this GPU (gfx1200): v_pk_add_f32
// GFX1250: v_pk_add_f32 v[4:5], v[8:9], v[16:17] op_sel_hi:[0,0] ; encoding: [0x04,0x40,0x29,0xcc,0x08,0x21,0x02,0x02]

v_pk_add_f32 v[4:5], v[8:9], v[16:17] op_sel_hi:[1,0]
// GFX12-ERR: :[[@LINE-1]]:1: error: instruction not supported on this GPU (gfx1200): v_pk_add_f32
// GFX1250: v_pk_add_f32 v[4:5], v[8:9], v[16:17] op_sel_hi:[1,0] ; encoding: [0x04,0x40,0x29,0xcc,0x08,0x21,0x02,0x0a]
	;; [unrolled: 4-line block ×3, first 2 shown]

v_pk_add_f32 v[4:5], v[8:9], v[16:17] neg_lo:[1,0]
// GFX12-ERR: :[[@LINE-1]]:1: error: instruction not supported on this GPU (gfx1200): v_pk_add_f32
// GFX1250: v_pk_add_f32 v[4:5], v[8:9], v[16:17] neg_lo:[1,0] ; encoding: [0x04,0x40,0x29,0xcc,0x08,0x21,0x02,0x3a]

v_pk_add_f32 v[4:5], v[8:9], v[16:17] neg_lo:[0,1]
// GFX12-ERR: :[[@LINE-1]]:1: error: instruction not supported on this GPU (gfx1200): v_pk_add_f32
// GFX1250: v_pk_add_f32 v[4:5], v[8:9], v[16:17] neg_lo:[0,1] ; encoding: [0x04,0x40,0x29,0xcc,0x08,0x21,0x02,0x5a]
	;; [unrolled: 4-line block ×3, first 2 shown]

v_pk_add_f32 v[4:5], v[8:9], v[16:17] neg_hi:[1,0]
// GFX12-ERR: :[[@LINE-1]]:1: error: instruction not supported on this GPU (gfx1200): v_pk_add_f32
// GFX1250: v_pk_add_f32 v[4:5], v[8:9], v[16:17] neg_hi:[1,0] ; encoding: [0x04,0x41,0x29,0xcc,0x08,0x21,0x02,0x1a]

v_pk_add_f32 v[4:5], v[8:9], v[16:17] neg_hi:[0,1]
// GFX12-ERR: :[[@LINE-1]]:1: error: instruction not supported on this GPU (gfx1200): v_pk_add_f32
// GFX1250: v_pk_add_f32 v[4:5], v[8:9], v[16:17] neg_hi:[0,1] ; encoding: [0x04,0x42,0x29,0xcc,0x08,0x21,0x02,0x1a]
	;; [unrolled: 4-line block ×3, first 2 shown]

v_pk_add_f32 v[4:5], v[8:9], v[16:17] clamp
// GFX12-ERR: :[[@LINE-1]]:1: error: instruction not supported on this GPU (gfx1200): v_pk_add_f32
// GFX1250: v_pk_add_f32 v[4:5], v[8:9], v[16:17] clamp ; encoding: [0x04,0xc0,0x29,0xcc,0x08,0x21,0x02,0x1a]

v_pk_add_f32 v[0:1], v[2:3], 1.0
// GFX12-ERR: :[[@LINE-1]]:1: error: instruction not supported on this GPU (gfx1200): v_pk_add_f32
// GFX1250: v_pk_add_f32 v[0:1], v[2:3], 1.0        ; encoding: [0x00,0x40,0x29,0xcc,0x02,0xe5,0x01,0x1a]

v_pk_add_f32 v[0:1], v[2:3], s[2:3] op_sel_hi:[1,0]
// GFX12-ERR: :[[@LINE-1]]:1: error: instruction not supported on this GPU (gfx1200): v_pk_add_f32
// GFX1250: v_pk_add_f32 v[0:1], v[2:3], s[2:3] op_sel_hi:[1,0] ; encoding: [0x00,0x40,0x29,0xcc,0x02,0x05,0x00,0x0a]

v_pk_add_f32 v[0:1], s[2:3], v[2:3] op_sel_hi:[0,0]
// GFX12-ERR: :[[@LINE-1]]:1: error: instruction not supported on this GPU (gfx1200): v_pk_add_f32
// GFX1250: v_pk_add_f32 v[0:1], s[2:3], v[2:3] op_sel_hi:[0,0] ; encoding: [0x00,0x40,0x29,0xcc,0x02,0x04,0x02,0x02]

v_pk_add_min_i16 v10, v1, v2, v3
// GFX12-ERR: :[[@LINE-1]]:1: error: instruction not supported on this GPU (gfx1200): v_pk_add_min_i16
// GFX1250: v_pk_add_min_i16 v10, v1, v2, v3        ; encoding: [0x0a,0x40,0x2d,0xcc,0x01,0x05,0x0e,0x1c]

v_pk_add_min_i16 v10, s1, v2, v3
// GFX12-ERR: :[[@LINE-1]]:1: error: instruction not supported on this GPU (gfx1200): v_pk_add_min_i16
// GFX1250: v_pk_add_min_i16 v10, s1, v2, v3        ; encoding: [0x0a,0x40,0x2d,0xcc,0x01,0x04,0x0e,0x1c]

v_pk_add_min_i16 v10, s1, v2, v3 clamp
// GFX12-ERR: :[[@LINE-1]]:1: error: instruction not supported on this GPU (gfx1200): v_pk_add_min_i16
// GFX1250: v_pk_add_min_i16 v10, s1, v2, v3 clamp  ; encoding: [0x0a,0xc0,0x2d,0xcc,0x01,0x04,0x0e,0x1c]

v_pk_add_min_i16 v10, 100, v2, v3
// GFX12-ERR: :[[@LINE-1]]:1: error: instruction not supported on this GPU (gfx1200): v_pk_add_min_i16
// GFX1250: v_pk_add_min_i16 v10, 0x64, v2, v3      ; encoding: [0x0a,0x40,0x2d,0xcc,0xff,0x04,0x0e,0x1c,0x64,0x00,0x00,0x00]

v_pk_add_min_i16 v10, 100, 100, v3
// GFX12-ERR: :[[@LINE-1]]:1: error: instruction not supported on this GPU (gfx1200): v_pk_add_min_i16
// GFX1250: v_pk_add_min_i16 v10, 0x64, 0x64, v3    ; encoding: [0x0a,0x40,0x2d,0xcc,0xff,0xfe,0x0d,0x1c,0x64,0x00,0x00,0x00]

v_pk_add_min_i16 v10, 100, 100, 100
// GFX12-ERR: :[[@LINE-1]]:1: error: instruction not supported on this GPU (gfx1200): v_pk_add_min_i16
// GFX1250: v_pk_add_min_i16 v10, 0x64, 0x64, 0x64  ; encoding: [0x0a,0x40,0x2d,0xcc,0xff,0xfe,0xfd,0x1b,0x64,0x00,0x00,0x00]

v_pk_add_min_i16 v10, v1, 100, 100
// GFX12-ERR: :[[@LINE-1]]:1: error: instruction not supported on this GPU (gfx1200): v_pk_add_min_i16
// GFX1250: v_pk_add_min_i16 v10, v1, 0x64, 0x64    ; encoding: [0x0a,0x40,0x2d,0xcc,0x01,0xff,0xfd,0x1b,0x64,0x00,0x00,0x00]

v_pk_add_min_i16 v10, v1, v2, 100
// GFX12-ERR: :[[@LINE-1]]:1: error: instruction not supported on this GPU (gfx1200): v_pk_add_min_i16
// GFX1250: v_pk_add_min_i16 v10, v1, v2, 0x64      ; encoding: [0x0a,0x40,0x2d,0xcc,0x01,0x05,0xfe,0x1b,0x64,0x00,0x00,0x00]

v_pk_add_min_i16 v10, v1, v2, v3 op_sel:[0,1,0]
// GFX12-ERR: :[[@LINE-1]]:1: error: instruction not supported on this GPU (gfx1200): v_pk_add_min_i16
// GFX1250: v_pk_add_min_i16 v10, v1, v2, v3 op_sel:[0,1,0] ; encoding: [0x0a,0x50,0x2d,0xcc,0x01,0x05,0x0e,0x1c]

v_pk_add_min_i16 v10, v1, v2, v3 op_sel:[0,1,1]
// GFX12-ERR: :[[@LINE-1]]:1: error: instruction not supported on this GPU (gfx1200): v_pk_add_min_i16
// GFX1250: v_pk_add_min_i16 v10, v1, v2, v3 op_sel:[0,1,1] ; encoding: [0x0a,0x70,0x2d,0xcc,0x01,0x05,0x0e,0x1c]
	;; [unrolled: 4-line block ×3, first 2 shown]

v_pk_add_min_i16 v10, v1, v2, v3 op_sel_hi:[1,0,0]
// GFX12-ERR: :[[@LINE-1]]:1: error: instruction not supported on this GPU (gfx1200): v_pk_add_min_i16
// GFX1250: v_pk_add_min_i16 v10, v1, v2, v3 op_sel_hi:[1,0,0] ; encoding: [0x0a,0x00,0x2d,0xcc,0x01,0x05,0x0e,0x0c]

v_pk_add_min_i16 v10, v1, v2, v3 op_sel_hi:[0,1,1]
// GFX12-ERR: :[[@LINE-1]]:1: error: instruction not supported on this GPU (gfx1200): v_pk_add_min_i16
// GFX1250: v_pk_add_min_i16 v10, v1, v2, v3 op_sel_hi:[0,1,1] ; encoding: [0x0a,0x40,0x2d,0xcc,0x01,0x05,0x0e,0x14]

v_pk_add_min_i16 v10, v1, v2, v3 op_sel:[1,0,0] op_sel_hi:[0,1,1]
// GFX12-ERR: :[[@LINE-1]]:1: error: instruction not supported on this GPU (gfx1200): v_pk_add_min_i16
// GFX1250: v_pk_add_min_i16 v10, v1, v2, v3 op_sel:[1,0,0] op_sel_hi:[0,1,1] ; encoding: [0x0a,0x48,0x2d,0xcc,0x01,0x05,0x0e,0x14]

v_pk_add_min_i16 v10, s1, 100, v3 op_sel:[1,0,0] op_sel_hi:[0,1,1] clamp
// GFX12-ERR: :[[@LINE-1]]:1: error: instruction not supported on this GPU (gfx1200): v_pk_add_min_i16
// GFX1250: v_pk_add_min_i16 v10, s1, 0x64, v3 op_sel:[1,0,0] op_sel_hi:[0,1,1] clamp ; encoding: [0x0a,0xc8,0x2d,0xcc,0x01,0xfe,0x0d,0x14,0x64,0x00,0x00,0x00]

v_pk_add_max_i16 v10, v1, v2, v3
// GFX12-ERR: :[[@LINE-1]]:1: error: instruction not supported on this GPU (gfx1200): v_pk_add_max_i16
// GFX1250: v_pk_add_max_i16 v10, v1, v2, v3        ; encoding: [0x0a,0x40,0x14,0xcc,0x01,0x05,0x0e,0x1c]

v_pk_add_max_i16 v10, s1, v2, v3
// GFX12-ERR: :[[@LINE-1]]:1: error: instruction not supported on this GPU (gfx1200): v_pk_add_max_i16
// GFX1250: v_pk_add_max_i16 v10, s1, v2, v3        ; encoding: [0x0a,0x40,0x14,0xcc,0x01,0x04,0x0e,0x1c]

v_pk_add_max_i16 v10, s1, v2, v3 clamp
// GFX12-ERR: :[[@LINE-1]]:1: error: instruction not supported on this GPU (gfx1200): v_pk_add_max_i16
// GFX1250: v_pk_add_max_i16 v10, s1, v2, v3 clamp  ; encoding: [0x0a,0xc0,0x14,0xcc,0x01,0x04,0x0e,0x1c]

v_pk_add_max_i16 v10, 100, v2, v3
// GFX12-ERR: :[[@LINE-1]]:1: error: instruction not supported on this GPU (gfx1200): v_pk_add_max_i16
// GFX1250: v_pk_add_max_i16 v10, 0x64, v2, v3      ; encoding: [0x0a,0x40,0x14,0xcc,0xff,0x04,0x0e,0x1c,0x64,0x00,0x00,0x00]

v_pk_add_max_i16 v10, 100, 100, v3
// GFX12-ERR: :[[@LINE-1]]:1: error: instruction not supported on this GPU (gfx1200): v_pk_add_max_i16
// GFX1250: v_pk_add_max_i16 v10, 0x64, 0x64, v3    ; encoding: [0x0a,0x40,0x14,0xcc,0xff,0xfe,0x0d,0x1c,0x64,0x00,0x00,0x00]

v_pk_add_max_i16 v10, 100, 100, 100
// GFX12-ERR: :[[@LINE-1]]:1: error: instruction not supported on this GPU (gfx1200): v_pk_add_max_i16
// GFX1250: v_pk_add_max_i16 v10, 0x64, 0x64, 0x64  ; encoding: [0x0a,0x40,0x14,0xcc,0xff,0xfe,0xfd,0x1b,0x64,0x00,0x00,0x00]

v_pk_add_max_i16 v10, v1, 100, 100
// GFX12-ERR: :[[@LINE-1]]:1: error: instruction not supported on this GPU (gfx1200): v_pk_add_max_i16
// GFX1250: v_pk_add_max_i16 v10, v1, 0x64, 0x64    ; encoding: [0x0a,0x40,0x14,0xcc,0x01,0xff,0xfd,0x1b,0x64,0x00,0x00,0x00]

v_pk_add_max_i16 v10, v1, v2, 100
// GFX12-ERR: :[[@LINE-1]]:1: error: instruction not supported on this GPU (gfx1200): v_pk_add_max_i16
// GFX1250: v_pk_add_max_i16 v10, v1, v2, 0x64      ; encoding: [0x0a,0x40,0x14,0xcc,0x01,0x05,0xfe,0x1b,0x64,0x00,0x00,0x00]

v_pk_add_max_i16 v10, v1, v2, v3 op_sel:[0,1,0]
// GFX12-ERR: :[[@LINE-1]]:1: error: instruction not supported on this GPU (gfx1200): v_pk_add_max_i16
// GFX1250: v_pk_add_max_i16 v10, v1, v2, v3 op_sel:[0,1,0] ; encoding: [0x0a,0x50,0x14,0xcc,0x01,0x05,0x0e,0x1c]

v_pk_add_max_i16 v10, v1, v2, v3 op_sel:[0,1,1]
// GFX12-ERR: :[[@LINE-1]]:1: error: instruction not supported on this GPU (gfx1200): v_pk_add_max_i16
// GFX1250: v_pk_add_max_i16 v10, v1, v2, v3 op_sel:[0,1,1] ; encoding: [0x0a,0x70,0x14,0xcc,0x01,0x05,0x0e,0x1c]

v_pk_add_max_i16 v10, v1, v2, v3 op_sel:[1,0,0]
// GFX12-ERR: :[[@LINE-1]]:1: error: instruction not supported on this GPU (gfx1200): v_pk_add_max_i16
// GFX1250: v_pk_add_max_i16 v10, v1, v2, v3 op_sel:[1,0,0] ; encoding: [0x0a,0x48,0x14,0xcc,0x01,0x05,0x0e,0x1c]

v_pk_add_max_i16 v10, v1, v2, v3 op_sel_hi:[1,0,0]
// GFX12-ERR: :[[@LINE-1]]:1: error: instruction not supported on this GPU (gfx1200): v_pk_add_max_i16
// GFX1250: v_pk_add_max_i16 v10, v1, v2, v3 op_sel_hi:[1,0,0] ; encoding: [0x0a,0x00,0x14,0xcc,0x01,0x05,0x0e,0x0c]

v_pk_add_max_i16 v10, v1, v2, v3 op_sel_hi:[0,1,1]
// GFX12-ERR: :[[@LINE-1]]:1: error: instruction not supported on this GPU (gfx1200): v_pk_add_max_i16
// GFX1250: v_pk_add_max_i16 v10, v1, v2, v3 op_sel_hi:[0,1,1] ; encoding: [0x0a,0x40,0x14,0xcc,0x01,0x05,0x0e,0x14]

v_pk_add_max_i16 v10, v1, v2, v3 op_sel:[1,0,0] op_sel_hi:[0,1,1]
// GFX12-ERR: :[[@LINE-1]]:1: error: instruction not supported on this GPU (gfx1200): v_pk_add_max_i16
// GFX1250: v_pk_add_max_i16 v10, v1, v2, v3 op_sel:[1,0,0] op_sel_hi:[0,1,1] ; encoding: [0x0a,0x48,0x14,0xcc,0x01,0x05,0x0e,0x14]

v_pk_add_max_i16 v10, s1, 100, v3 op_sel:[1,0,0] op_sel_hi:[0,1,1] clamp
// GFX12-ERR: :[[@LINE-1]]:1: error: instruction not supported on this GPU (gfx1200): v_pk_add_max_i16
// GFX1250: v_pk_add_max_i16 v10, s1, 0x64, v3 op_sel:[1,0,0] op_sel_hi:[0,1,1] clamp ; encoding: [0x0a,0xc8,0x14,0xcc,0x01,0xfe,0x0d,0x14,0x64,0x00,0x00,0x00]

v_pk_add_min_u16 v10, v1, v2, v3
// GFX12-ERR: :[[@LINE-1]]:1: error: instruction not supported on this GPU (gfx1200): v_pk_add_min_u16
// GFX1250: v_pk_add_min_u16 v10, v1, v2, v3        ; encoding: [0x0a,0x40,0x2e,0xcc,0x01,0x05,0x0e,0x1c]

v_pk_add_min_u16 v10, s1, v2, v3
// GFX12-ERR: :[[@LINE-1]]:1: error: instruction not supported on this GPU (gfx1200): v_pk_add_min_u16
// GFX1250: v_pk_add_min_u16 v10, s1, v2, v3        ; encoding: [0x0a,0x40,0x2e,0xcc,0x01,0x04,0x0e,0x1c]

v_pk_add_min_u16 v10, s1, v2, v3 clamp
// GFX12-ERR: :[[@LINE-1]]:1: error: instruction not supported on this GPU (gfx1200): v_pk_add_min_u16
// GFX1250: v_pk_add_min_u16 v10, s1, v2, v3 clamp  ; encoding: [0x0a,0xc0,0x2e,0xcc,0x01,0x04,0x0e,0x1c]

v_pk_add_min_u16 v10, 100, v2, v3
// GFX12-ERR: :[[@LINE-1]]:1: error: instruction not supported on this GPU (gfx1200): v_pk_add_min_u16
// GFX1250: v_pk_add_min_u16 v10, 0x64, v2, v3      ; encoding: [0x0a,0x40,0x2e,0xcc,0xff,0x04,0x0e,0x1c,0x64,0x00,0x00,0x00]

v_pk_add_min_u16 v10, 100, 100, v3
// GFX12-ERR: :[[@LINE-1]]:1: error: instruction not supported on this GPU (gfx1200): v_pk_add_min_u16
// GFX1250: v_pk_add_min_u16 v10, 0x64, 0x64, v3    ; encoding: [0x0a,0x40,0x2e,0xcc,0xff,0xfe,0x0d,0x1c,0x64,0x00,0x00,0x00]

v_pk_add_min_u16 v10, 100, 100, 100
// GFX12-ERR: :[[@LINE-1]]:1: error: instruction not supported on this GPU (gfx1200): v_pk_add_min_u16
// GFX1250: v_pk_add_min_u16 v10, 0x64, 0x64, 0x64  ; encoding: [0x0a,0x40,0x2e,0xcc,0xff,0xfe,0xfd,0x1b,0x64,0x00,0x00,0x00]

v_pk_add_min_u16 v10, v1, 100, 100
// GFX12-ERR: :[[@LINE-1]]:1: error: instruction not supported on this GPU (gfx1200): v_pk_add_min_u16
// GFX1250: v_pk_add_min_u16 v10, v1, 0x64, 0x64    ; encoding: [0x0a,0x40,0x2e,0xcc,0x01,0xff,0xfd,0x1b,0x64,0x00,0x00,0x00]

v_pk_add_min_u16 v10, v1, v2, 100
// GFX12-ERR: :[[@LINE-1]]:1: error: instruction not supported on this GPU (gfx1200): v_pk_add_min_u16
// GFX1250: v_pk_add_min_u16 v10, v1, v2, 0x64      ; encoding: [0x0a,0x40,0x2e,0xcc,0x01,0x05,0xfe,0x1b,0x64,0x00,0x00,0x00]

v_pk_add_min_u16 v10, v1, v2, v3 op_sel:[0,1,0]
// GFX12-ERR: :[[@LINE-1]]:1: error: instruction not supported on this GPU (gfx1200): v_pk_add_min_u16
// GFX1250: v_pk_add_min_u16 v10, v1, v2, v3 op_sel:[0,1,0] ; encoding: [0x0a,0x50,0x2e,0xcc,0x01,0x05,0x0e,0x1c]

v_pk_add_min_u16 v10, v1, v2, v3 op_sel:[0,1,1]
// GFX12-ERR: :[[@LINE-1]]:1: error: instruction not supported on this GPU (gfx1200): v_pk_add_min_u16
// GFX1250: v_pk_add_min_u16 v10, v1, v2, v3 op_sel:[0,1,1] ; encoding: [0x0a,0x70,0x2e,0xcc,0x01,0x05,0x0e,0x1c]
	;; [unrolled: 4-line block ×3, first 2 shown]

v_pk_add_min_u16 v10, v1, v2, v3 op_sel_hi:[1,0,0]
// GFX12-ERR: :[[@LINE-1]]:1: error: instruction not supported on this GPU (gfx1200): v_pk_add_min_u16
// GFX1250: v_pk_add_min_u16 v10, v1, v2, v3 op_sel_hi:[1,0,0] ; encoding: [0x0a,0x00,0x2e,0xcc,0x01,0x05,0x0e,0x0c]

v_pk_add_min_u16 v10, v1, v2, v3 op_sel_hi:[0,1,1]
// GFX12-ERR: :[[@LINE-1]]:1: error: instruction not supported on this GPU (gfx1200): v_pk_add_min_u16
// GFX1250: v_pk_add_min_u16 v10, v1, v2, v3 op_sel_hi:[0,1,1] ; encoding: [0x0a,0x40,0x2e,0xcc,0x01,0x05,0x0e,0x14]

v_pk_add_min_u16 v10, v1, v2, v3 op_sel:[1,0,0] op_sel_hi:[0,1,1]
// GFX12-ERR: :[[@LINE-1]]:1: error: instruction not supported on this GPU (gfx1200): v_pk_add_min_u16
// GFX1250: v_pk_add_min_u16 v10, v1, v2, v3 op_sel:[1,0,0] op_sel_hi:[0,1,1] ; encoding: [0x0a,0x48,0x2e,0xcc,0x01,0x05,0x0e,0x14]

v_pk_add_min_u16 v10, s1, 100, v3 op_sel:[1,0,0] op_sel_hi:[0,1,1] clamp
// GFX12-ERR: :[[@LINE-1]]:1: error: instruction not supported on this GPU (gfx1200): v_pk_add_min_u16
// GFX1250: v_pk_add_min_u16 v10, s1, 0x64, v3 op_sel:[1,0,0] op_sel_hi:[0,1,1] clamp ; encoding: [0x0a,0xc8,0x2e,0xcc,0x01,0xfe,0x0d,0x14,0x64,0x00,0x00,0x00]

v_pk_add_max_u16 v10, v1, v2, v3
// GFX12-ERR: :[[@LINE-1]]:1: error: instruction not supported on this GPU (gfx1200): v_pk_add_max_u16
// GFX1250: v_pk_add_max_u16 v10, v1, v2, v3        ; encoding: [0x0a,0x40,0x15,0xcc,0x01,0x05,0x0e,0x1c]

v_pk_add_max_u16 v10, s1, v2, v3
// GFX12-ERR: :[[@LINE-1]]:1: error: instruction not supported on this GPU (gfx1200): v_pk_add_max_u16
// GFX1250: v_pk_add_max_u16 v10, s1, v2, v3        ; encoding: [0x0a,0x40,0x15,0xcc,0x01,0x04,0x0e,0x1c]

v_pk_add_max_u16 v10, s1, v2, v3 clamp
// GFX12-ERR: :[[@LINE-1]]:1: error: instruction not supported on this GPU (gfx1200): v_pk_add_max_u16
// GFX1250: v_pk_add_max_u16 v10, s1, v2, v3 clamp  ; encoding: [0x0a,0xc0,0x15,0xcc,0x01,0x04,0x0e,0x1c]

v_pk_add_max_u16 v10, 100, v2, v3
// GFX12-ERR: :[[@LINE-1]]:1: error: instruction not supported on this GPU (gfx1200): v_pk_add_max_u16
// GFX1250: v_pk_add_max_u16 v10, 0x64, v2, v3      ; encoding: [0x0a,0x40,0x15,0xcc,0xff,0x04,0x0e,0x1c,0x64,0x00,0x00,0x00]

v_pk_add_max_u16 v10, 100, 100, v3
// GFX12-ERR: :[[@LINE-1]]:1: error: instruction not supported on this GPU (gfx1200): v_pk_add_max_u16
// GFX1250: v_pk_add_max_u16 v10, 0x64, 0x64, v3    ; encoding: [0x0a,0x40,0x15,0xcc,0xff,0xfe,0x0d,0x1c,0x64,0x00,0x00,0x00]

v_pk_add_max_u16 v10, 100, 100, 100
// GFX12-ERR: :[[@LINE-1]]:1: error: instruction not supported on this GPU (gfx1200): v_pk_add_max_u16
// GFX1250: v_pk_add_max_u16 v10, 0x64, 0x64, 0x64  ; encoding: [0x0a,0x40,0x15,0xcc,0xff,0xfe,0xfd,0x1b,0x64,0x00,0x00,0x00]

v_pk_add_max_u16 v10, v1, 100, 100
// GFX12-ERR: :[[@LINE-1]]:1: error: instruction not supported on this GPU (gfx1200): v_pk_add_max_u16
// GFX1250: v_pk_add_max_u16 v10, v1, 0x64, 0x64    ; encoding: [0x0a,0x40,0x15,0xcc,0x01,0xff,0xfd,0x1b,0x64,0x00,0x00,0x00]

v_pk_add_max_u16 v10, v1, v2, 100
// GFX12-ERR: :[[@LINE-1]]:1: error: instruction not supported on this GPU (gfx1200): v_pk_add_max_u16
// GFX1250: v_pk_add_max_u16 v10, v1, v2, 0x64      ; encoding: [0x0a,0x40,0x15,0xcc,0x01,0x05,0xfe,0x1b,0x64,0x00,0x00,0x00]

v_pk_add_max_u16 v10, v1, v2, v3 op_sel:[0,1,0]
// GFX12-ERR: :[[@LINE-1]]:1: error: instruction not supported on this GPU (gfx1200): v_pk_add_max_u16
// GFX1250: v_pk_add_max_u16 v10, v1, v2, v3 op_sel:[0,1,0] ; encoding: [0x0a,0x50,0x15,0xcc,0x01,0x05,0x0e,0x1c]

v_pk_add_max_u16 v10, v1, v2, v3 op_sel:[0,1,1]
// GFX12-ERR: :[[@LINE-1]]:1: error: instruction not supported on this GPU (gfx1200): v_pk_add_max_u16
// GFX1250: v_pk_add_max_u16 v10, v1, v2, v3 op_sel:[0,1,1] ; encoding: [0x0a,0x70,0x15,0xcc,0x01,0x05,0x0e,0x1c]
	;; [unrolled: 4-line block ×3, first 2 shown]

v_pk_add_max_u16 v10, v1, v2, v3 op_sel_hi:[1,0,0]
// GFX12-ERR: :[[@LINE-1]]:1: error: instruction not supported on this GPU (gfx1200): v_pk_add_max_u16
// GFX1250: v_pk_add_max_u16 v10, v1, v2, v3 op_sel_hi:[1,0,0] ; encoding: [0x0a,0x00,0x15,0xcc,0x01,0x05,0x0e,0x0c]

v_pk_add_max_u16 v10, v1, v2, v3 op_sel_hi:[0,1,1]
// GFX12-ERR: :[[@LINE-1]]:1: error: instruction not supported on this GPU (gfx1200): v_pk_add_max_u16
// GFX1250: v_pk_add_max_u16 v10, v1, v2, v3 op_sel_hi:[0,1,1] ; encoding: [0x0a,0x40,0x15,0xcc,0x01,0x05,0x0e,0x14]

v_pk_add_max_u16 v10, v1, v2, v3 op_sel:[1,0,0] op_sel_hi:[0,1,1]
// GFX12-ERR: :[[@LINE-1]]:1: error: instruction not supported on this GPU (gfx1200): v_pk_add_max_u16
// GFX1250: v_pk_add_max_u16 v10, v1, v2, v3 op_sel:[1,0,0] op_sel_hi:[0,1,1] ; encoding: [0x0a,0x48,0x15,0xcc,0x01,0x05,0x0e,0x14]

v_pk_add_max_u16 v10, s1, 100, v3 op_sel:[1,0,0] op_sel_hi:[0,1,1] clamp
// GFX12-ERR: :[[@LINE-1]]:1: error: instruction not supported on this GPU (gfx1200): v_pk_add_max_u16
// GFX1250: v_pk_add_max_u16 v10, s1, 0x64, v3 op_sel:[1,0,0] op_sel_hi:[0,1,1] clamp ; encoding: [0x0a,0xc8,0x15,0xcc,0x01,0xfe,0x0d,0x14,0x64,0x00,0x00,0x00]

v_pk_min3_i16 v10, v1, v2, v3
// GFX12-ERR: :[[@LINE-1]]:1: error: instruction not supported on this GPU (gfx1200): v_pk_min3_i16
// GFX1250: v_pk_min3_i16 v10, v1, v2, v3           ; encoding: [0x0a,0x40,0x31,0xcc,0x01,0x05,0x0e,0x1c]

v_pk_min3_i16 v10, s1, v2, v3
// GFX12-ERR: :[[@LINE-1]]:1: error: instruction not supported on this GPU (gfx1200): v_pk_min3_i16
// GFX1250: v_pk_min3_i16 v10, s1, v2, v3           ; encoding: [0x0a,0x40,0x31,0xcc,0x01,0x04,0x0e,0x1c]

v_pk_min3_i16 v10, s1, v2, v3 clamp
// GFX12-ERR: :[[@LINE-1]]:1: error: instruction not supported on this GPU (gfx1200): v_pk_min3_i16
// GFX1250: v_pk_min3_i16 v10, s1, v2, v3 clamp     ; encoding: [0x0a,0xc0,0x31,0xcc,0x01,0x04,0x0e,0x1c]

v_pk_min3_i16 v10, 100, v2, v3
// GFX12-ERR: :[[@LINE-1]]:1: error: instruction not supported on this GPU (gfx1200): v_pk_min3_i16
// GFX1250: v_pk_min3_i16 v10, 0x64, v2, v3         ; encoding: [0x0a,0x40,0x31,0xcc,0xff,0x04,0x0e,0x1c,0x64,0x00,0x00,0x00]

v_pk_min3_i16 v10, 100, 100, v3
// GFX12-ERR: :[[@LINE-1]]:1: error: instruction not supported on this GPU (gfx1200): v_pk_min3_i16
// GFX1250: v_pk_min3_i16 v10, 0x64, 0x64, v3       ; encoding: [0x0a,0x40,0x31,0xcc,0xff,0xfe,0x0d,0x1c,0x64,0x00,0x00,0x00]

v_pk_min3_i16 v10, 100, 100, 100
// GFX12-ERR: :[[@LINE-1]]:1: error: instruction not supported on this GPU (gfx1200): v_pk_min3_i16
// GFX1250: v_pk_min3_i16 v10, 0x64, 0x64, 0x64     ; encoding: [0x0a,0x40,0x31,0xcc,0xff,0xfe,0xfd,0x1b,0x64,0x00,0x00,0x00]

v_pk_min3_i16 v10, v1, 100, 100
// GFX12-ERR: :[[@LINE-1]]:1: error: instruction not supported on this GPU (gfx1200): v_pk_min3_i16
// GFX1250: v_pk_min3_i16 v10, v1, 0x64, 0x64       ; encoding: [0x0a,0x40,0x31,0xcc,0x01,0xff,0xfd,0x1b,0x64,0x00,0x00,0x00]

v_pk_min3_i16 v10, v1, v2, 100
// GFX12-ERR: :[[@LINE-1]]:1: error: instruction not supported on this GPU (gfx1200): v_pk_min3_i16
// GFX1250: v_pk_min3_i16 v10, v1, v2, 0x64         ; encoding: [0x0a,0x40,0x31,0xcc,0x01,0x05,0xfe,0x1b,0x64,0x00,0x00,0x00]

v_pk_min3_i16 v10, v1, v2, v3 op_sel:[0,1,0]
// GFX12-ERR: :[[@LINE-1]]:1: error: instruction not supported on this GPU (gfx1200): v_pk_min3_i16
// GFX1250: v_pk_min3_i16 v10, v1, v2, v3 op_sel:[0,1,0] ; encoding: [0x0a,0x50,0x31,0xcc,0x01,0x05,0x0e,0x1c]

v_pk_min3_i16 v10, v1, v2, v3 op_sel:[0,1,1]
// GFX12-ERR: :[[@LINE-1]]:1: error: instruction not supported on this GPU (gfx1200): v_pk_min3_i16
// GFX1250: v_pk_min3_i16 v10, v1, v2, v3 op_sel:[0,1,1] ; encoding: [0x0a,0x70,0x31,0xcc,0x01,0x05,0x0e,0x1c]
	;; [unrolled: 4-line block ×3, first 2 shown]

v_pk_min3_i16 v10, v1, v2, v3 op_sel_hi:[1,0,0]
// GFX12-ERR: :[[@LINE-1]]:1: error: instruction not supported on this GPU (gfx1200): v_pk_min3_i16
// GFX1250: v_pk_min3_i16 v10, v1, v2, v3 op_sel_hi:[1,0,0] ; encoding: [0x0a,0x00,0x31,0xcc,0x01,0x05,0x0e,0x0c]

v_pk_min3_i16 v10, v1, v2, v3 op_sel_hi:[0,1,1]
// GFX12-ERR: :[[@LINE-1]]:1: error: instruction not supported on this GPU (gfx1200): v_pk_min3_i16
// GFX1250: v_pk_min3_i16 v10, v1, v2, v3 op_sel_hi:[0,1,1] ; encoding: [0x0a,0x40,0x31,0xcc,0x01,0x05,0x0e,0x14]

v_pk_min3_i16 v10, v1, v2, v3 op_sel:[1,0,0] op_sel_hi:[0,1,1]
// GFX12-ERR: :[[@LINE-1]]:1: error: instruction not supported on this GPU (gfx1200): v_pk_min3_i16
// GFX1250: v_pk_min3_i16 v10, v1, v2, v3 op_sel:[1,0,0] op_sel_hi:[0,1,1] ; encoding: [0x0a,0x48,0x31,0xcc,0x01,0x05,0x0e,0x14]

v_pk_min3_i16 v10, s1, 100, v3 op_sel:[1,0,0] op_sel_hi:[0,1,1] clamp
// GFX12-ERR: :[[@LINE-1]]:1: error: instruction not supported on this GPU (gfx1200): v_pk_min3_i16
// GFX1250: v_pk_min3_i16 v10, s1, 0x64, v3 op_sel:[1,0,0] op_sel_hi:[0,1,1] clamp ; encoding: [0x0a,0xc8,0x31,0xcc,0x01,0xfe,0x0d,0x14,0x64,0x00,0x00,0x00]

v_pk_max3_i16 v10, v1, v2, v3
// GFX12-ERR: :[[@LINE-1]]:1: error: instruction not supported on this GPU (gfx1200): v_pk_max3_i16
// GFX1250: v_pk_max3_i16 v10, v1, v2, v3           ; encoding: [0x0a,0x40,0x2f,0xcc,0x01,0x05,0x0e,0x1c]

v_pk_max3_i16 v10, s1, v2, v3
// GFX12-ERR: :[[@LINE-1]]:1: error: instruction not supported on this GPU (gfx1200): v_pk_max3_i16
// GFX1250: v_pk_max3_i16 v10, s1, v2, v3           ; encoding: [0x0a,0x40,0x2f,0xcc,0x01,0x04,0x0e,0x1c]

v_pk_max3_i16 v10, s1, v2, v3 clamp
// GFX12-ERR: :[[@LINE-1]]:1: error: instruction not supported on this GPU (gfx1200): v_pk_max3_i16
// GFX1250: v_pk_max3_i16 v10, s1, v2, v3 clamp     ; encoding: [0x0a,0xc0,0x2f,0xcc,0x01,0x04,0x0e,0x1c]

v_pk_max3_i16 v10, 100, v2, v3
// GFX12-ERR: :[[@LINE-1]]:1: error: instruction not supported on this GPU (gfx1200): v_pk_max3_i16
// GFX1250: v_pk_max3_i16 v10, 0x64, v2, v3         ; encoding: [0x0a,0x40,0x2f,0xcc,0xff,0x04,0x0e,0x1c,0x64,0x00,0x00,0x00]

v_pk_max3_i16 v10, 100, 100, v3
// GFX12-ERR: :[[@LINE-1]]:1: error: instruction not supported on this GPU (gfx1200): v_pk_max3_i16
// GFX1250: v_pk_max3_i16 v10, 0x64, 0x64, v3       ; encoding: [0x0a,0x40,0x2f,0xcc,0xff,0xfe,0x0d,0x1c,0x64,0x00,0x00,0x00]

v_pk_max3_i16 v10, 100, 100, 100
// GFX12-ERR: :[[@LINE-1]]:1: error: instruction not supported on this GPU (gfx1200): v_pk_max3_i16
// GFX1250: v_pk_max3_i16 v10, 0x64, 0x64, 0x64     ; encoding: [0x0a,0x40,0x2f,0xcc,0xff,0xfe,0xfd,0x1b,0x64,0x00,0x00,0x00]

v_pk_max3_i16 v10, v1, 100, 100
// GFX12-ERR: :[[@LINE-1]]:1: error: instruction not supported on this GPU (gfx1200): v_pk_max3_i16
// GFX1250: v_pk_max3_i16 v10, v1, 0x64, 0x64       ; encoding: [0x0a,0x40,0x2f,0xcc,0x01,0xff,0xfd,0x1b,0x64,0x00,0x00,0x00]

v_pk_max3_i16 v10, v1, v2, 100
// GFX12-ERR: :[[@LINE-1]]:1: error: instruction not supported on this GPU (gfx1200): v_pk_max3_i16
// GFX1250: v_pk_max3_i16 v10, v1, v2, 0x64         ; encoding: [0x0a,0x40,0x2f,0xcc,0x01,0x05,0xfe,0x1b,0x64,0x00,0x00,0x00]

v_pk_max3_i16 v10, v1, v2, v3 op_sel:[0,1,0]
// GFX12-ERR: :[[@LINE-1]]:1: error: instruction not supported on this GPU (gfx1200): v_pk_max3_i16
// GFX1250: v_pk_max3_i16 v10, v1, v2, v3 op_sel:[0,1,0] ; encoding: [0x0a,0x50,0x2f,0xcc,0x01,0x05,0x0e,0x1c]

v_pk_max3_i16 v10, v1, v2, v3 op_sel:[0,1,1]
// GFX12-ERR: :[[@LINE-1]]:1: error: instruction not supported on this GPU (gfx1200): v_pk_max3_i16
// GFX1250: v_pk_max3_i16 v10, v1, v2, v3 op_sel:[0,1,1] ; encoding: [0x0a,0x70,0x2f,0xcc,0x01,0x05,0x0e,0x1c]
	;; [unrolled: 4-line block ×3, first 2 shown]

v_pk_max3_i16 v10, v1, v2, v3 op_sel_hi:[1,0,0]
// GFX12-ERR: :[[@LINE-1]]:1: error: instruction not supported on this GPU (gfx1200): v_pk_max3_i16
// GFX1250: v_pk_max3_i16 v10, v1, v2, v3 op_sel_hi:[1,0,0] ; encoding: [0x0a,0x00,0x2f,0xcc,0x01,0x05,0x0e,0x0c]

v_pk_max3_i16 v10, v1, v2, v3 op_sel_hi:[0,1,1]
// GFX12-ERR: :[[@LINE-1]]:1: error: instruction not supported on this GPU (gfx1200): v_pk_max3_i16
// GFX1250: v_pk_max3_i16 v10, v1, v2, v3 op_sel_hi:[0,1,1] ; encoding: [0x0a,0x40,0x2f,0xcc,0x01,0x05,0x0e,0x14]

v_pk_max3_i16 v10, v1, v2, v3 op_sel:[1,0,0] op_sel_hi:[0,1,1]
// GFX12-ERR: :[[@LINE-1]]:1: error: instruction not supported on this GPU (gfx1200): v_pk_max3_i16
// GFX1250: v_pk_max3_i16 v10, v1, v2, v3 op_sel:[1,0,0] op_sel_hi:[0,1,1] ; encoding: [0x0a,0x48,0x2f,0xcc,0x01,0x05,0x0e,0x14]

v_pk_max3_i16 v10, s1, 100, v3 op_sel:[1,0,0] op_sel_hi:[0,1,1] clamp
// GFX12-ERR: :[[@LINE-1]]:1: error: instruction not supported on this GPU (gfx1200): v_pk_max3_i16
// GFX1250: v_pk_max3_i16 v10, s1, 0x64, v3 op_sel:[1,0,0] op_sel_hi:[0,1,1] clamp ; encoding: [0x0a,0xc8,0x2f,0xcc,0x01,0xfe,0x0d,0x14,0x64,0x00,0x00,0x00]

v_pk_min3_u16 v10, v1, v2, v3
// GFX12-ERR: :[[@LINE-1]]:1: error: instruction not supported on this GPU (gfx1200): v_pk_min3_u16
// GFX1250: v_pk_min3_u16 v10, v1, v2, v3           ; encoding: [0x0a,0x40,0x32,0xcc,0x01,0x05,0x0e,0x1c]

v_pk_min3_u16 v10, s1, v2, v3
// GFX12-ERR: :[[@LINE-1]]:1: error: instruction not supported on this GPU (gfx1200): v_pk_min3_u16
// GFX1250: v_pk_min3_u16 v10, s1, v2, v3           ; encoding: [0x0a,0x40,0x32,0xcc,0x01,0x04,0x0e,0x1c]

v_pk_min3_u16 v10, s1, v2, v3 clamp
// GFX12-ERR: :[[@LINE-1]]:1: error: instruction not supported on this GPU (gfx1200): v_pk_min3_u16
// GFX1250: v_pk_min3_u16 v10, s1, v2, v3 clamp     ; encoding: [0x0a,0xc0,0x32,0xcc,0x01,0x04,0x0e,0x1c]

v_pk_min3_u16 v10, 100, v2, v3
// GFX12-ERR: :[[@LINE-1]]:1: error: instruction not supported on this GPU (gfx1200): v_pk_min3_u16
// GFX1250: v_pk_min3_u16 v10, 0x64, v2, v3         ; encoding: [0x0a,0x40,0x32,0xcc,0xff,0x04,0x0e,0x1c,0x64,0x00,0x00,0x00]

v_pk_min3_u16 v10, 100, 100, v3
// GFX12-ERR: :[[@LINE-1]]:1: error: instruction not supported on this GPU (gfx1200): v_pk_min3_u16
// GFX1250: v_pk_min3_u16 v10, 0x64, 0x64, v3       ; encoding: [0x0a,0x40,0x32,0xcc,0xff,0xfe,0x0d,0x1c,0x64,0x00,0x00,0x00]

v_pk_min3_u16 v10, 100, 100, 100
// GFX12-ERR: :[[@LINE-1]]:1: error: instruction not supported on this GPU (gfx1200): v_pk_min3_u16
// GFX1250: v_pk_min3_u16 v10, 0x64, 0x64, 0x64     ; encoding: [0x0a,0x40,0x32,0xcc,0xff,0xfe,0xfd,0x1b,0x64,0x00,0x00,0x00]

v_pk_min3_u16 v10, v1, 100, 100
// GFX12-ERR: :[[@LINE-1]]:1: error: instruction not supported on this GPU (gfx1200): v_pk_min3_u16
// GFX1250: v_pk_min3_u16 v10, v1, 0x64, 0x64       ; encoding: [0x0a,0x40,0x32,0xcc,0x01,0xff,0xfd,0x1b,0x64,0x00,0x00,0x00]

v_pk_min3_u16 v10, v1, v2, 100
// GFX12-ERR: :[[@LINE-1]]:1: error: instruction not supported on this GPU (gfx1200): v_pk_min3_u16
// GFX1250: v_pk_min3_u16 v10, v1, v2, 0x64         ; encoding: [0x0a,0x40,0x32,0xcc,0x01,0x05,0xfe,0x1b,0x64,0x00,0x00,0x00]

v_pk_min3_u16 v10, v1, v2, v3 op_sel:[0,1,0]
// GFX12-ERR: :[[@LINE-1]]:1: error: instruction not supported on this GPU (gfx1200): v_pk_min3_u16
// GFX1250: v_pk_min3_u16 v10, v1, v2, v3 op_sel:[0,1,0] ; encoding: [0x0a,0x50,0x32,0xcc,0x01,0x05,0x0e,0x1c]

v_pk_min3_u16 v10, v1, v2, v3 op_sel:[0,1,1]
// GFX12-ERR: :[[@LINE-1]]:1: error: instruction not supported on this GPU (gfx1200): v_pk_min3_u16
// GFX1250: v_pk_min3_u16 v10, v1, v2, v3 op_sel:[0,1,1] ; encoding: [0x0a,0x70,0x32,0xcc,0x01,0x05,0x0e,0x1c]
	;; [unrolled: 4-line block ×3, first 2 shown]

v_pk_min3_u16 v10, v1, v2, v3 op_sel_hi:[1,0,0]
// GFX12-ERR: :[[@LINE-1]]:1: error: instruction not supported on this GPU (gfx1200): v_pk_min3_u16
// GFX1250: v_pk_min3_u16 v10, v1, v2, v3 op_sel_hi:[1,0,0] ; encoding: [0x0a,0x00,0x32,0xcc,0x01,0x05,0x0e,0x0c]

v_pk_min3_u16 v10, v1, v2, v3 op_sel_hi:[0,1,1]
// GFX12-ERR: :[[@LINE-1]]:1: error: instruction not supported on this GPU (gfx1200): v_pk_min3_u16
// GFX1250: v_pk_min3_u16 v10, v1, v2, v3 op_sel_hi:[0,1,1] ; encoding: [0x0a,0x40,0x32,0xcc,0x01,0x05,0x0e,0x14]

v_pk_min3_u16 v10, v1, v2, v3 op_sel:[1,0,0] op_sel_hi:[0,1,1]
// GFX12-ERR: :[[@LINE-1]]:1: error: instruction not supported on this GPU (gfx1200): v_pk_min3_u16
// GFX1250: v_pk_min3_u16 v10, v1, v2, v3 op_sel:[1,0,0] op_sel_hi:[0,1,1] ; encoding: [0x0a,0x48,0x32,0xcc,0x01,0x05,0x0e,0x14]

v_pk_min3_u16 v10, s1, 100, v3 op_sel:[1,0,0] op_sel_hi:[0,1,1] clamp
// GFX12-ERR: :[[@LINE-1]]:1: error: instruction not supported on this GPU (gfx1200): v_pk_min3_u16
// GFX1250: v_pk_min3_u16 v10, s1, 0x64, v3 op_sel:[1,0,0] op_sel_hi:[0,1,1] clamp ; encoding: [0x0a,0xc8,0x32,0xcc,0x01,0xfe,0x0d,0x14,0x64,0x00,0x00,0x00]

v_pk_max3_u16 v10, v1, v2, v3
// GFX12-ERR: :[[@LINE-1]]:1: error: instruction not supported on this GPU (gfx1200): v_pk_max3_u16
// GFX1250: v_pk_max3_u16 v10, v1, v2, v3           ; encoding: [0x0a,0x40,0x30,0xcc,0x01,0x05,0x0e,0x1c]

v_pk_max3_u16 v10, s1, v2, v3
// GFX12-ERR: :[[@LINE-1]]:1: error: instruction not supported on this GPU (gfx1200): v_pk_max3_u16
// GFX1250: v_pk_max3_u16 v10, s1, v2, v3           ; encoding: [0x0a,0x40,0x30,0xcc,0x01,0x04,0x0e,0x1c]

v_pk_max3_u16 v10, s1, v2, v3 clamp
// GFX12-ERR: :[[@LINE-1]]:1: error: instruction not supported on this GPU (gfx1200): v_pk_max3_u16
// GFX1250: v_pk_max3_u16 v10, s1, v2, v3 clamp     ; encoding: [0x0a,0xc0,0x30,0xcc,0x01,0x04,0x0e,0x1c]

v_pk_max3_u16 v10, 100, v2, v3
// GFX12-ERR: :[[@LINE-1]]:1: error: instruction not supported on this GPU (gfx1200): v_pk_max3_u16
// GFX1250: v_pk_max3_u16 v10, 0x64, v2, v3         ; encoding: [0x0a,0x40,0x30,0xcc,0xff,0x04,0x0e,0x1c,0x64,0x00,0x00,0x00]

v_pk_max3_u16 v10, 100, 100, v3
// GFX12-ERR: :[[@LINE-1]]:1: error: instruction not supported on this GPU (gfx1200): v_pk_max3_u16
// GFX1250: v_pk_max3_u16 v10, 0x64, 0x64, v3       ; encoding: [0x0a,0x40,0x30,0xcc,0xff,0xfe,0x0d,0x1c,0x64,0x00,0x00,0x00]

v_pk_max3_u16 v10, 100, 100, 100
// GFX12-ERR: :[[@LINE-1]]:1: error: instruction not supported on this GPU (gfx1200): v_pk_max3_u16
// GFX1250: v_pk_max3_u16 v10, 0x64, 0x64, 0x64     ; encoding: [0x0a,0x40,0x30,0xcc,0xff,0xfe,0xfd,0x1b,0x64,0x00,0x00,0x00]

v_pk_max3_u16 v10, v1, 100, 100
// GFX12-ERR: :[[@LINE-1]]:1: error: instruction not supported on this GPU (gfx1200): v_pk_max3_u16
// GFX1250: v_pk_max3_u16 v10, v1, 0x64, 0x64       ; encoding: [0x0a,0x40,0x30,0xcc,0x01,0xff,0xfd,0x1b,0x64,0x00,0x00,0x00]

v_pk_max3_u16 v10, v1, v2, 100
// GFX12-ERR: :[[@LINE-1]]:1: error: instruction not supported on this GPU (gfx1200): v_pk_max3_u16
// GFX1250: v_pk_max3_u16 v10, v1, v2, 0x64         ; encoding: [0x0a,0x40,0x30,0xcc,0x01,0x05,0xfe,0x1b,0x64,0x00,0x00,0x00]

v_pk_max3_u16 v10, v1, v2, v3 op_sel:[0,1,0]
// GFX12-ERR: :[[@LINE-1]]:1: error: instruction not supported on this GPU (gfx1200): v_pk_max3_u16
// GFX1250: v_pk_max3_u16 v10, v1, v2, v3 op_sel:[0,1,0] ; encoding: [0x0a,0x50,0x30,0xcc,0x01,0x05,0x0e,0x1c]

v_pk_max3_u16 v10, v1, v2, v3 op_sel:[0,1,1]
// GFX12-ERR: :[[@LINE-1]]:1: error: instruction not supported on this GPU (gfx1200): v_pk_max3_u16
// GFX1250: v_pk_max3_u16 v10, v1, v2, v3 op_sel:[0,1,1] ; encoding: [0x0a,0x70,0x30,0xcc,0x01,0x05,0x0e,0x1c]
	;; [unrolled: 4-line block ×3, first 2 shown]

v_pk_max3_u16 v10, v1, v2, v3 op_sel_hi:[1,0,0]
// GFX12-ERR: :[[@LINE-1]]:1: error: instruction not supported on this GPU (gfx1200): v_pk_max3_u16
// GFX1250: v_pk_max3_u16 v10, v1, v2, v3 op_sel_hi:[1,0,0] ; encoding: [0x0a,0x00,0x30,0xcc,0x01,0x05,0x0e,0x0c]

v_pk_max3_u16 v10, v1, v2, v3 op_sel_hi:[0,1,1]
// GFX12-ERR: :[[@LINE-1]]:1: error: instruction not supported on this GPU (gfx1200): v_pk_max3_u16
// GFX1250: v_pk_max3_u16 v10, v1, v2, v3 op_sel_hi:[0,1,1] ; encoding: [0x0a,0x40,0x30,0xcc,0x01,0x05,0x0e,0x14]

v_pk_max3_u16 v10, v1, v2, v3 op_sel:[1,0,0] op_sel_hi:[0,1,1]
// GFX12-ERR: :[[@LINE-1]]:1: error: instruction not supported on this GPU (gfx1200): v_pk_max3_u16
// GFX1250: v_pk_max3_u16 v10, v1, v2, v3 op_sel:[1,0,0] op_sel_hi:[0,1,1] ; encoding: [0x0a,0x48,0x30,0xcc,0x01,0x05,0x0e,0x14]

v_pk_max3_u16 v10, s1, 100, v3 op_sel:[1,0,0] op_sel_hi:[0,1,1] clamp
// GFX12-ERR: :[[@LINE-1]]:1: error: instruction not supported on this GPU (gfx1200): v_pk_max3_u16
// GFX1250: v_pk_max3_u16 v10, s1, 0x64, v3 op_sel:[1,0,0] op_sel_hi:[0,1,1] clamp ; encoding: [0x0a,0xc8,0x30,0xcc,0x01,0xfe,0x0d,0x14,0x64,0x00,0x00,0x00]

v_pk_add_bf16 v5, v1, v2
// GFX12-ERR: :[[@LINE-1]]:1: error: instruction not supported on this GPU (gfx1200): v_pk_add_bf16
// GFX1250: v_pk_add_bf16 v5, v1, v2                ; encoding: [0x05,0x40,0x23,0xcc,0x01,0x05,0x02,0x1a]

v_pk_add_bf16 v5, v255, v255
// GFX12-ERR: :[[@LINE-1]]:1: error: instruction not supported on this GPU (gfx1200): v_pk_add_bf16
// GFX1250: v_pk_add_bf16 v5, v255, v255            ; encoding: [0x05,0x40,0x23,0xcc,0xff,0xff,0x03,0x1a]

v_pk_add_bf16 v5, s1, s2
// GFX12-ERR: :[[@LINE-1]]:1: error: instruction not supported on this GPU (gfx1200): v_pk_add_bf16
// GFX1250: v_pk_add_bf16 v5, s1, s2                ; encoding: [0x05,0x40,0x23,0xcc,0x01,0x04,0x00,0x1a]

v_pk_add_bf16 v5, s105, s105
// GFX12-ERR: :[[@LINE-1]]:1: error: instruction not supported on this GPU (gfx1200): v_pk_add_bf16
// GFX1250: v_pk_add_bf16 v5, s105, s105            ; encoding: [0x05,0x40,0x23,0xcc,0x69,0xd2,0x00,0x1a]

v_pk_add_bf16 v5, vcc_lo, ttmp15
// GFX12-ERR: :[[@LINE-1]]:1: error: instruction not supported on this GPU (gfx1200): v_pk_add_bf16
// GFX1250: v_pk_add_bf16 v5, vcc_lo, ttmp15        ; encoding: [0x05,0x40,0x23,0xcc,0x6a,0xf6,0x00,0x1a]

v_pk_add_bf16 v5, vcc_hi, 0xfe0b
// GFX12-ERR: :[[@LINE-1]]:1: error: instruction not supported on this GPU (gfx1200): v_pk_add_bf16
// GFX1250: v_pk_add_bf16 v5, vcc_hi, 0xfe0b        ; encoding: [0x05,0x40,0x23,0xcc,0x6b,0xfe,0x01,0x1a,0x0b,0xfe,0x00,0x00]

v_pk_add_bf16 v5, ttmp15, src_scc
// GFX12-ERR: :[[@LINE-1]]:1: error: instruction not supported on this GPU (gfx1200): v_pk_add_bf16
// GFX1250: v_pk_add_bf16 v5, ttmp15, src_scc       ; encoding: [0x05,0x40,0x23,0xcc,0x7b,0xfa,0x01,0x1a]

v_pk_add_bf16 v5, m0, 0.5
// GFX12-ERR: :[[@LINE-1]]:1: error: instruction not supported on this GPU (gfx1200): v_pk_add_bf16
// GFX1250: v_pk_add_bf16 v5, m0, 0.5               ; encoding: [0x05,0x40,0x23,0xcc,0x7d,0xe0,0x01,0x1a]

v_pk_add_bf16 v5, exec_lo, -1
// GFX12-ERR: :[[@LINE-1]]:1: error: instruction not supported on this GPU (gfx1200): v_pk_add_bf16
// GFX1250: v_pk_add_bf16 v5, exec_lo, -1           ; encoding: [0x05,0x40,0x23,0xcc,0x7e,0x82,0x01,0x1a]

v_pk_add_bf16 v5, exec_hi, null
// GFX12-ERR: :[[@LINE-1]]:1: error: instruction not supported on this GPU (gfx1200): v_pk_add_bf16
// GFX1250: v_pk_add_bf16 v5, exec_hi, null         ; encoding: [0x05,0x40,0x23,0xcc,0x7f,0xf8,0x00,0x1a]

v_pk_add_bf16 v5, null, exec_lo
// GFX12-ERR: :[[@LINE-1]]:1: error: instruction not supported on this GPU (gfx1200): v_pk_add_bf16
// GFX1250: v_pk_add_bf16 v5, null, exec_lo         ; encoding: [0x05,0x40,0x23,0xcc,0x7c,0xfc,0x00,0x1a]

v_pk_add_bf16 v5, -1, exec_hi op_sel:[1,1] op_sel_hi:[0,0] neg_lo:[1,0] neg_hi:[1,0]
// GFX12-ERR: :[[@LINE-1]]:1: error: instruction not supported on this GPU (gfx1200): v_pk_add_bf16
// GFX1250: v_pk_add_bf16 v5, -1, exec_hi op_sel:[1,1] op_sel_hi:[0,0] neg_lo:[1,0] neg_hi:[1,0] ; encoding: [0x05,0x59,0x23,0xcc,0xc1,0xfe,0x00,0x22]

v_pk_add_bf16 v5, 0.5, m0 op_sel:[0,0] op_sel_hi:[1,1] neg_lo:[0,1] neg_hi:[0,1]
// GFX12-ERR: :[[@LINE-1]]:1: error: instruction not supported on this GPU (gfx1200): v_pk_add_bf16
// GFX1250: v_pk_add_bf16 v5, 0.5, m0 neg_lo:[0,1] neg_hi:[0,1] ; encoding: [0x05,0x42,0x23,0xcc,0xf0,0xfa,0x00,0x5a]

v_pk_add_bf16 v5, src_scc, vcc_lo op_sel:[1,0] op_sel_hi:[0,1] neg_lo:[0,0] neg_hi:[0,0]
// GFX12-ERR: :[[@LINE-1]]:1: error: instruction not supported on this GPU (gfx1200): v_pk_add_bf16
// GFX1250: v_pk_add_bf16 v5, src_scc, vcc_lo op_sel:[1,0] op_sel_hi:[0,1] ; encoding: [0x05,0x48,0x23,0xcc,0xfd,0xd4,0x00,0x12]

v_pk_add_bf16 v255, 0xfe0b, vcc_hi op_sel:[0,1] op_sel_hi:[1,0] neg_lo:[1,1] neg_hi:[1,1] clamp
// GFX12-ERR: :[[@LINE-1]]:1: error: instruction not supported on this GPU (gfx1200): v_pk_add_bf16
// GFX1250: v_pk_add_bf16 v255, 0xfe0b, vcc_hi op_sel:[0,1] op_sel_hi:[1,0] neg_lo:[1,1] neg_hi:[1,1] clamp ; encoding: [0xff,0xd3,0x23,0xcc,0xff,0xd6,0x00,0x6a,0x0b,0xfe,0x00,0x00]

v_pk_mul_bf16 v5, v1, v2
// GFX12-ERR: :[[@LINE-1]]:1: error: instruction not supported on this GPU (gfx1200): v_pk_mul_bf16
// GFX1250: v_pk_mul_bf16 v5, v1, v2                ; encoding: [0x05,0x40,0x2a,0xcc,0x01,0x05,0x02,0x1a]

v_pk_mul_bf16 v5, v255, v255
// GFX12-ERR: :[[@LINE-1]]:1: error: instruction not supported on this GPU (gfx1200): v_pk_mul_bf16
// GFX1250: v_pk_mul_bf16 v5, v255, v255            ; encoding: [0x05,0x40,0x2a,0xcc,0xff,0xff,0x03,0x1a]

v_pk_mul_bf16 v5, s1, s2
// GFX12-ERR: :[[@LINE-1]]:1: error: instruction not supported on this GPU (gfx1200): v_pk_mul_bf16
// GFX1250: v_pk_mul_bf16 v5, s1, s2                ; encoding: [0x05,0x40,0x2a,0xcc,0x01,0x04,0x00,0x1a]

v_pk_mul_bf16 v5, s105, s105
// GFX12-ERR: :[[@LINE-1]]:1: error: instruction not supported on this GPU (gfx1200): v_pk_mul_bf16
// GFX1250: v_pk_mul_bf16 v5, s105, s105            ; encoding: [0x05,0x40,0x2a,0xcc,0x69,0xd2,0x00,0x1a]

v_pk_mul_bf16 v5, vcc_lo, ttmp15
// GFX12-ERR: :[[@LINE-1]]:1: error: instruction not supported on this GPU (gfx1200): v_pk_mul_bf16
// GFX1250: v_pk_mul_bf16 v5, vcc_lo, ttmp15        ; encoding: [0x05,0x40,0x2a,0xcc,0x6a,0xf6,0x00,0x1a]

v_pk_mul_bf16 v5, vcc_hi, 0xfe0b
// GFX12-ERR: :[[@LINE-1]]:1: error: instruction not supported on this GPU (gfx1200): v_pk_mul_bf16
// GFX1250: v_pk_mul_bf16 v5, vcc_hi, 0xfe0b        ; encoding: [0x05,0x40,0x2a,0xcc,0x6b,0xfe,0x01,0x1a,0x0b,0xfe,0x00,0x00]

v_pk_mul_bf16 v5, ttmp15, src_scc
// GFX12-ERR: :[[@LINE-1]]:1: error: instruction not supported on this GPU (gfx1200): v_pk_mul_bf16
// GFX1250: v_pk_mul_bf16 v5, ttmp15, src_scc       ; encoding: [0x05,0x40,0x2a,0xcc,0x7b,0xfa,0x01,0x1a]

v_pk_mul_bf16 v5, m0, 0.5
// GFX12-ERR: :[[@LINE-1]]:1: error: instruction not supported on this GPU (gfx1200): v_pk_mul_bf16
// GFX1250: v_pk_mul_bf16 v5, m0, 0.5               ; encoding: [0x05,0x40,0x2a,0xcc,0x7d,0xe0,0x01,0x1a]

v_pk_mul_bf16 v5, exec_lo, -1
// GFX12-ERR: :[[@LINE-1]]:1: error: instruction not supported on this GPU (gfx1200): v_pk_mul_bf16
// GFX1250: v_pk_mul_bf16 v5, exec_lo, -1           ; encoding: [0x05,0x40,0x2a,0xcc,0x7e,0x82,0x01,0x1a]

v_pk_mul_bf16 v5, exec_hi, null
// GFX12-ERR: :[[@LINE-1]]:1: error: instruction not supported on this GPU (gfx1200): v_pk_mul_bf16
// GFX1250: v_pk_mul_bf16 v5, exec_hi, null         ; encoding: [0x05,0x40,0x2a,0xcc,0x7f,0xf8,0x00,0x1a]

v_pk_mul_bf16 v5, null, exec_lo
// GFX12-ERR: :[[@LINE-1]]:1: error: instruction not supported on this GPU (gfx1200): v_pk_mul_bf16
// GFX1250: v_pk_mul_bf16 v5, null, exec_lo         ; encoding: [0x05,0x40,0x2a,0xcc,0x7c,0xfc,0x00,0x1a]

v_pk_mul_bf16 v5, -1, exec_hi op_sel:[1,1] op_sel_hi:[0,0] neg_lo:[1,0] neg_hi:[1,0]
// GFX12-ERR: :[[@LINE-1]]:1: error: instruction not supported on this GPU (gfx1200): v_pk_mul_bf16
// GFX1250: v_pk_mul_bf16 v5, -1, exec_hi op_sel:[1,1] op_sel_hi:[0,0] neg_lo:[1,0] neg_hi:[1,0] ; encoding: [0x05,0x59,0x2a,0xcc,0xc1,0xfe,0x00,0x22]

v_pk_mul_bf16 v5, 0.5, m0 op_sel:[0,0] op_sel_hi:[1,1] neg_lo:[0,1] neg_hi:[0,1]
// GFX12-ERR: :[[@LINE-1]]:1: error: instruction not supported on this GPU (gfx1200): v_pk_mul_bf16
// GFX1250: v_pk_mul_bf16 v5, 0.5, m0 neg_lo:[0,1] neg_hi:[0,1] ; encoding: [0x05,0x42,0x2a,0xcc,0xf0,0xfa,0x00,0x5a]

v_pk_mul_bf16 v5, src_scc, vcc_lo op_sel:[1,0] op_sel_hi:[0,1] neg_lo:[0,0] neg_hi:[0,0]
// GFX12-ERR: :[[@LINE-1]]:1: error: instruction not supported on this GPU (gfx1200): v_pk_mul_bf16
// GFX1250: v_pk_mul_bf16 v5, src_scc, vcc_lo op_sel:[1,0] op_sel_hi:[0,1] ; encoding: [0x05,0x48,0x2a,0xcc,0xfd,0xd4,0x00,0x12]

v_pk_mul_bf16 v255, 0xfe0b, vcc_hi op_sel:[0,1] op_sel_hi:[1,0] neg_lo:[1,1] neg_hi:[1,1] clamp
// GFX12-ERR: :[[@LINE-1]]:1: error: instruction not supported on this GPU (gfx1200): v_pk_mul_bf16
// GFX1250: v_pk_mul_bf16 v255, 0xfe0b, vcc_hi op_sel:[0,1] op_sel_hi:[1,0] neg_lo:[1,1] neg_hi:[1,1] clamp ; encoding: [0xff,0xd3,0x2a,0xcc,0xff,0xd6,0x00,0x6a,0x0b,0xfe,0x00,0x00]

v_pk_max_num_bf16 v5, v1, v2
// GFX12-ERR: :[[@LINE-1]]:1: error: instruction not supported on this GPU (gfx1200): v_pk_max_num_bf16
// GFX1250: v_pk_max_num_bf16 v5, v1, v2            ; encoding: [0x05,0x40,0x2c,0xcc,0x01,0x05,0x02,0x1a]

v_pk_max_num_bf16 v5, v255, v255
// GFX12-ERR: :[[@LINE-1]]:1: error: instruction not supported on this GPU (gfx1200): v_pk_max_num_bf16
// GFX1250: v_pk_max_num_bf16 v5, v255, v255        ; encoding: [0x05,0x40,0x2c,0xcc,0xff,0xff,0x03,0x1a]

v_pk_max_num_bf16 v5, s1, s2
// GFX12-ERR: :[[@LINE-1]]:1: error: instruction not supported on this GPU (gfx1200): v_pk_max_num_bf16
// GFX1250: v_pk_max_num_bf16 v5, s1, s2            ; encoding: [0x05,0x40,0x2c,0xcc,0x01,0x04,0x00,0x1a]

v_pk_max_num_bf16 v5, s105, s105
// GFX12-ERR: :[[@LINE-1]]:1: error: instruction not supported on this GPU (gfx1200): v_pk_max_num_bf16
// GFX1250: v_pk_max_num_bf16 v5, s105, s105        ; encoding: [0x05,0x40,0x2c,0xcc,0x69,0xd2,0x00,0x1a]

v_pk_max_num_bf16 v5, vcc_lo, ttmp15
// GFX12-ERR: :[[@LINE-1]]:1: error: instruction not supported on this GPU (gfx1200): v_pk_max_num_bf16
// GFX1250: v_pk_max_num_bf16 v5, vcc_lo, ttmp15    ; encoding: [0x05,0x40,0x2c,0xcc,0x6a,0xf6,0x00,0x1a]

v_pk_max_num_bf16 v5, vcc_hi, 0xfe0b
// GFX12-ERR: :[[@LINE-1]]:1: error: instruction not supported on this GPU (gfx1200): v_pk_max_num_bf16
// GFX1250: v_pk_max_num_bf16 v5, vcc_hi, 0xfe0b    ; encoding: [0x05,0x40,0x2c,0xcc,0x6b,0xfe,0x01,0x1a,0x0b,0xfe,0x00,0x00]

v_pk_max_num_bf16 v5, ttmp15, src_scc
// GFX12-ERR: :[[@LINE-1]]:1: error: instruction not supported on this GPU (gfx1200): v_pk_max_num_bf16
// GFX1250: v_pk_max_num_bf16 v5, ttmp15, src_scc   ; encoding: [0x05,0x40,0x2c,0xcc,0x7b,0xfa,0x01,0x1a]

v_pk_max_num_bf16 v5, m0, 0.5
// GFX12-ERR: :[[@LINE-1]]:1: error: instruction not supported on this GPU (gfx1200): v_pk_max_num_bf16
// GFX1250: v_pk_max_num_bf16 v5, m0, 0.5           ; encoding: [0x05,0x40,0x2c,0xcc,0x7d,0xe0,0x01,0x1a]

v_pk_max_num_bf16 v5, exec_lo, -1
// GFX12-ERR: :[[@LINE-1]]:1: error: instruction not supported on this GPU (gfx1200): v_pk_max_num_bf16
// GFX1250: v_pk_max_num_bf16 v5, exec_lo, -1       ; encoding: [0x05,0x40,0x2c,0xcc,0x7e,0x82,0x01,0x1a]

v_pk_max_num_bf16 v5, exec_hi, null
// GFX12-ERR: :[[@LINE-1]]:1: error: instruction not supported on this GPU (gfx1200): v_pk_max_num_bf16
// GFX1250: v_pk_max_num_bf16 v5, exec_hi, null     ; encoding: [0x05,0x40,0x2c,0xcc,0x7f,0xf8,0x00,0x1a]

v_pk_max_num_bf16 v5, null, exec_lo
// GFX12-ERR: :[[@LINE-1]]:1: error: instruction not supported on this GPU (gfx1200): v_pk_max_num_bf16
// GFX1250: v_pk_max_num_bf16 v5, null, exec_lo     ; encoding: [0x05,0x40,0x2c,0xcc,0x7c,0xfc,0x00,0x1a]

v_pk_max_num_bf16 v5, -1, exec_hi op_sel:[1,1] op_sel_hi:[0,0] neg_lo:[1,0] neg_hi:[1,0]
// GFX12-ERR: :[[@LINE-1]]:1: error: instruction not supported on this GPU (gfx1200): v_pk_max_num_bf16
// GFX1250: v_pk_max_num_bf16 v5, -1, exec_hi op_sel:[1,1] op_sel_hi:[0,0] neg_lo:[1,0] neg_hi:[1,0] ; encoding: [0x05,0x59,0x2c,0xcc,0xc1,0xfe,0x00,0x22]

v_pk_max_num_bf16 v5, 0.5, m0 op_sel:[0,0] op_sel_hi:[1,1] neg_lo:[0,1] neg_hi:[0,1]
// GFX12-ERR: :[[@LINE-1]]:1: error: instruction not supported on this GPU (gfx1200): v_pk_max_num_bf16
// GFX1250: v_pk_max_num_bf16 v5, 0.5, m0 neg_lo:[0,1] neg_hi:[0,1] ; encoding: [0x05,0x42,0x2c,0xcc,0xf0,0xfa,0x00,0x5a]

v_pk_max_num_bf16 v5, src_scc, vcc_lo op_sel:[1,0] op_sel_hi:[0,1] neg_lo:[0,0] neg_hi:[0,0]
// GFX12-ERR: :[[@LINE-1]]:1: error: instruction not supported on this GPU (gfx1200): v_pk_max_num_bf16
// GFX1250: v_pk_max_num_bf16 v5, src_scc, vcc_lo op_sel:[1,0] op_sel_hi:[0,1] ; encoding: [0x05,0x48,0x2c,0xcc,0xfd,0xd4,0x00,0x12]

v_pk_max_num_bf16 v255, 0xfe0b, vcc_hi op_sel:[0,1] op_sel_hi:[1,0] neg_lo:[1,1] neg_hi:[1,1] clamp
// GFX12-ERR: :[[@LINE-1]]:1: error: instruction not supported on this GPU (gfx1200): v_pk_max_num_bf16
// GFX1250: v_pk_max_num_bf16 v255, 0xfe0b, vcc_hi op_sel:[0,1] op_sel_hi:[1,0] neg_lo:[1,1] neg_hi:[1,1] clamp ; encoding: [0xff,0xd3,0x2c,0xcc,0xff,0xd6,0x00,0x6a,0x0b,0xfe,0x00,0x00]

v_pk_min_num_bf16 v5, v1, v2
// GFX12-ERR: :[[@LINE-1]]:1: error: instruction not supported on this GPU (gfx1200): v_pk_min_num_bf16
// GFX1250: v_pk_min_num_bf16 v5, v1, v2            ; encoding: [0x05,0x40,0x2b,0xcc,0x01,0x05,0x02,0x1a]

v_pk_min_num_bf16 v5, v255, v255
// GFX12-ERR: :[[@LINE-1]]:1: error: instruction not supported on this GPU (gfx1200): v_pk_min_num_bf16
// GFX1250: v_pk_min_num_bf16 v5, v255, v255        ; encoding: [0x05,0x40,0x2b,0xcc,0xff,0xff,0x03,0x1a]

v_pk_min_num_bf16 v5, s1, s2
// GFX12-ERR: :[[@LINE-1]]:1: error: instruction not supported on this GPU (gfx1200): v_pk_min_num_bf16
// GFX1250: v_pk_min_num_bf16 v5, s1, s2            ; encoding: [0x05,0x40,0x2b,0xcc,0x01,0x04,0x00,0x1a]

v_pk_min_num_bf16 v5, s105, s105
// GFX12-ERR: :[[@LINE-1]]:1: error: instruction not supported on this GPU (gfx1200): v_pk_min_num_bf16
// GFX1250: v_pk_min_num_bf16 v5, s105, s105        ; encoding: [0x05,0x40,0x2b,0xcc,0x69,0xd2,0x00,0x1a]

v_pk_min_num_bf16 v5, vcc_lo, ttmp15
// GFX12-ERR: :[[@LINE-1]]:1: error: instruction not supported on this GPU (gfx1200): v_pk_min_num_bf16
// GFX1250: v_pk_min_num_bf16 v5, vcc_lo, ttmp15    ; encoding: [0x05,0x40,0x2b,0xcc,0x6a,0xf6,0x00,0x1a]

v_pk_min_num_bf16 v5, vcc_hi, 0xfe0b
// GFX12-ERR: :[[@LINE-1]]:1: error: instruction not supported on this GPU (gfx1200): v_pk_min_num_bf16
// GFX1250: v_pk_min_num_bf16 v5, vcc_hi, 0xfe0b    ; encoding: [0x05,0x40,0x2b,0xcc,0x6b,0xfe,0x01,0x1a,0x0b,0xfe,0x00,0x00]

v_pk_min_num_bf16 v5, ttmp15, src_scc
// GFX12-ERR: :[[@LINE-1]]:1: error: instruction not supported on this GPU (gfx1200): v_pk_min_num_bf16
// GFX1250: v_pk_min_num_bf16 v5, ttmp15, src_scc   ; encoding: [0x05,0x40,0x2b,0xcc,0x7b,0xfa,0x01,0x1a]

v_pk_min_num_bf16 v5, m0, 0.5
// GFX12-ERR: :[[@LINE-1]]:1: error: instruction not supported on this GPU (gfx1200): v_pk_min_num_bf16
// GFX1250: v_pk_min_num_bf16 v5, m0, 0.5           ; encoding: [0x05,0x40,0x2b,0xcc,0x7d,0xe0,0x01,0x1a]

v_pk_min_num_bf16 v5, exec_lo, -1
// GFX12-ERR: :[[@LINE-1]]:1: error: instruction not supported on this GPU (gfx1200): v_pk_min_num_bf16
// GFX1250: v_pk_min_num_bf16 v5, exec_lo, -1       ; encoding: [0x05,0x40,0x2b,0xcc,0x7e,0x82,0x01,0x1a]

v_pk_min_num_bf16 v5, exec_hi, null
// GFX12-ERR: :[[@LINE-1]]:1: error: instruction not supported on this GPU (gfx1200): v_pk_min_num_bf16
// GFX1250: v_pk_min_num_bf16 v5, exec_hi, null     ; encoding: [0x05,0x40,0x2b,0xcc,0x7f,0xf8,0x00,0x1a]

v_pk_min_num_bf16 v5, null, exec_lo
// GFX12-ERR: :[[@LINE-1]]:1: error: instruction not supported on this GPU (gfx1200): v_pk_min_num_bf16
// GFX1250: v_pk_min_num_bf16 v5, null, exec_lo     ; encoding: [0x05,0x40,0x2b,0xcc,0x7c,0xfc,0x00,0x1a]

v_pk_min_num_bf16 v5, -1, exec_hi op_sel:[1,1] op_sel_hi:[0,0] neg_lo:[1,0] neg_hi:[1,0]
// GFX12-ERR: :[[@LINE-1]]:1: error: instruction not supported on this GPU (gfx1200): v_pk_min_num_bf16
// GFX1250: v_pk_min_num_bf16 v5, -1, exec_hi op_sel:[1,1] op_sel_hi:[0,0] neg_lo:[1,0] neg_hi:[1,0] ; encoding: [0x05,0x59,0x2b,0xcc,0xc1,0xfe,0x00,0x22]

v_pk_min_num_bf16 v5, 0.5, m0 op_sel:[0,0] op_sel_hi:[1,1] neg_lo:[0,1] neg_hi:[0,1]
// GFX12-ERR: :[[@LINE-1]]:1: error: instruction not supported on this GPU (gfx1200): v_pk_min_num_bf16
// GFX1250: v_pk_min_num_bf16 v5, 0.5, m0 neg_lo:[0,1] neg_hi:[0,1] ; encoding: [0x05,0x42,0x2b,0xcc,0xf0,0xfa,0x00,0x5a]

v_pk_min_num_bf16 v5, src_scc, vcc_lo op_sel:[1,0] op_sel_hi:[0,1] neg_lo:[0,0] neg_hi:[0,0]
// GFX12-ERR: :[[@LINE-1]]:1: error: instruction not supported on this GPU (gfx1200): v_pk_min_num_bf16
// GFX1250: v_pk_min_num_bf16 v5, src_scc, vcc_lo op_sel:[1,0] op_sel_hi:[0,1] ; encoding: [0x05,0x48,0x2b,0xcc,0xfd,0xd4,0x00,0x12]

v_pk_min_num_bf16 v255, 0xfe0b, vcc_hi op_sel:[0,1] op_sel_hi:[1,0] neg_lo:[1,1] neg_hi:[1,1] clamp
// GFX12-ERR: :[[@LINE-1]]:1: error: instruction not supported on this GPU (gfx1200): v_pk_min_num_bf16
// GFX1250: v_pk_min_num_bf16 v255, 0xfe0b, vcc_hi op_sel:[0,1] op_sel_hi:[1,0] neg_lo:[1,1] neg_hi:[1,1] clamp ; encoding: [0xff,0xd3,0x2b,0xcc,0xff,0xd6,0x00,0x6a,0x0b,0xfe,0x00,0x00]

v_pk_fma_bf16 v5, v1, v2, s3
// GFX12-ERR: :[[@LINE-1]]:1: error: instruction not supported on this GPU (gfx1200): v_pk_fma_bf16
// GFX1250: v_pk_fma_bf16 v5, v1, v2, s3            ; encoding: [0x05,0x40,0x11,0xcc,0x01,0x05,0x0e,0x18]

v_pk_fma_bf16 v5, v255, s2, s105
// GFX12-ERR: :[[@LINE-1]]:1: error: instruction not supported on this GPU (gfx1200): v_pk_fma_bf16
// GFX1250: v_pk_fma_bf16 v5, v255, s2, s105        ; encoding: [0x05,0x40,0x11,0xcc,0xff,0x05,0xa4,0x19]

v_pk_fma_bf16 v5, s1, v255, exec_hi
// GFX12-ERR: :[[@LINE-1]]:1: error: instruction not supported on this GPU (gfx1200): v_pk_fma_bf16
// GFX1250: v_pk_fma_bf16 v5, s1, v255, exec_hi     ; encoding: [0x05,0x40,0x11,0xcc,0x01,0xfe,0xff,0x19]

v_pk_fma_bf16 v5, s105, s105, exec_lo
// GFX12-ERR: :[[@LINE-1]]:1: error: instruction not supported on this GPU (gfx1200): v_pk_fma_bf16
// GFX1250: v_pk_fma_bf16 v5, s105, s105, exec_lo   ; encoding: [0x05,0x40,0x11,0xcc,0x69,0xd2,0xf8,0x19]

v_pk_fma_bf16 v5, vcc_lo, ttmp15, v3
// GFX12-ERR: :[[@LINE-1]]:1: error: instruction not supported on this GPU (gfx1200): v_pk_fma_bf16
// GFX1250: v_pk_fma_bf16 v5, vcc_lo, ttmp15, v3    ; encoding: [0x05,0x40,0x11,0xcc,0x6a,0xf6,0x0c,0x1c]

v_pk_fma_bf16 v5, vcc_hi, 0xfe0b, v255
// GFX12-ERR: :[[@LINE-1]]:1: error: instruction not supported on this GPU (gfx1200): v_pk_fma_bf16
// GFX1250: v_pk_fma_bf16 v5, vcc_hi, 0xfe0b, v255  ; encoding: [0x05,0x40,0x11,0xcc,0x6b,0xfe,0xfd,0x1f,0x0b,0xfe,0x00,0x00]

v_pk_fma_bf16 v5, ttmp15, src_scc, ttmp15
// GFX12-ERR: :[[@LINE-1]]:1: error: instruction not supported on this GPU (gfx1200): v_pk_fma_bf16
// GFX1250: v_pk_fma_bf16 v5, ttmp15, src_scc, ttmp15 ; encoding: [0x05,0x40,0x11,0xcc,0x7b,0xfa,0xed,0x19]

v_pk_fma_bf16 v5, m0, 0.5, m0 op_sel_hi:[0,0,0]
// GFX12-ERR: :[[@LINE-1]]:1: error: instruction not supported on this GPU (gfx1200): v_pk_fma_bf16
// GFX1250: v_pk_fma_bf16 v5, m0, 0.5, m0 op_sel_hi:[0,0,0] ; encoding: [0x05,0x00,0x11,0xcc,0x7d,0xe0,0xf5,0x01]

v_pk_fma_bf16 v5, exec_lo, -1, vcc_hi op_sel_hi:[0,0,1]
// GFX12-ERR: :[[@LINE-1]]:1: error: instruction not supported on this GPU (gfx1200): v_pk_fma_bf16
// GFX1250: v_pk_fma_bf16 v5, exec_lo, -1, vcc_hi op_sel_hi:[0,0,1] ; encoding: [0x05,0x40,0x11,0xcc,0x7e,0x82,0xad,0x01]

v_pk_fma_bf16 v5, exec_hi, null, vcc_lo op_sel_hi:[0,1,0]
// GFX12-ERR: :[[@LINE-1]]:1: error: instruction not supported on this GPU (gfx1200): v_pk_fma_bf16
// GFX1250: v_pk_fma_bf16 v5, exec_hi, null, vcc_lo op_sel_hi:[0,1,0] ; encoding: [0x05,0x00,0x11,0xcc,0x7f,0xf8,0xa8,0x11]

v_pk_fma_bf16 v5, null, exec_lo, 0xfe0b op_sel:[1,1,1] op_sel_hi:[1,0,0] neg_lo:[1,0,0] neg_hi:[1,0,0]
// GFX12-ERR: :[[@LINE-1]]:1: error: instruction not supported on this GPU (gfx1200): v_pk_fma_bf16
// GFX1250: v_pk_fma_bf16 v5, null, exec_lo, 0xfe0b op_sel:[1,1,1] op_sel_hi:[1,0,0] neg_lo:[1,0,0] neg_hi:[1,0,0] ; encoding: [0x05,0x39,0x11,0xcc,0x7c,0xfc,0xfc,0x2b,0x0b,0xfe,0x00,0x00]

v_pk_fma_bf16 v5, -1, exec_hi, src_scc op_sel:[0,0,0] op_sel_hi:[1,1,1] neg_lo:[0,1,0] neg_hi:[0,1,0]
// GFX12-ERR: :[[@LINE-1]]:1: error: instruction not supported on this GPU (gfx1200): v_pk_fma_bf16
// GFX1250: v_pk_fma_bf16 v5, -1, exec_hi, src_scc neg_lo:[0,1,0] neg_hi:[0,1,0] ; encoding: [0x05,0x42,0x11,0xcc,0xc1,0xfe,0xf4,0x5b]

v_pk_fma_bf16 v5, 0.5, m0, 0.5 op_sel:[1,0,0] op_sel_hi:[0,1,1] neg_lo:[0,0,1] neg_hi:[0,0,1]
// GFX12-ERR: :[[@LINE-1]]:1: error: instruction not supported on this GPU (gfx1200): v_pk_fma_bf16
// GFX1250: v_pk_fma_bf16 v5, 0.5, m0, 0.5 op_sel:[1,0,0] op_sel_hi:[0,1,1] neg_lo:[0,0,1] neg_hi:[0,0,1] ; encoding: [0x05,0x4c,0x11,0xcc,0xf0,0xfa,0xc0,0x93]

v_pk_fma_bf16 v5, src_scc, vcc_lo, -1 op_sel:[0,1,0] op_sel_hi:[1,0,1] neg_lo:[0,0,0] neg_hi:[0,0,0]
// GFX12-ERR: :[[@LINE-1]]:1: error: instruction not supported on this GPU (gfx1200): v_pk_fma_bf16
// GFX1250: v_pk_fma_bf16 v5, src_scc, vcc_lo, -1 op_sel:[0,1,0] op_sel_hi:[1,0,1] ; encoding: [0x05,0x50,0x11,0xcc,0xfd,0xd4,0x04,0x0b]

v_pk_fma_bf16 v255, 0xfe0b, vcc_hi, null op_sel:[0,0,1] op_sel_hi:[1,1,0] neg_lo:[1,1,1] neg_hi:[1,1,1] clamp
// GFX12-ERR: :[[@LINE-1]]:1: error: instruction not supported on this GPU (gfx1200): v_pk_fma_bf16
// GFX1250: v_pk_fma_bf16 v255, 0xfe0b, vcc_hi, null op_sel:[0,0,1] op_sel_hi:[1,1,0] neg_lo:[1,1,1] neg_hi:[1,1,1] clamp ; encoding: [0xff,0xa7,0x11,0xcc,0xff,0xd6,0xf0,0xf9,0x0b,0xfe,0x00,0x00]

v_pk_minimum3_f16 v8, v1, s1, v4
// GFX12-ERR: :[[@LINE-1]]:1: error: instruction not supported on this GPU (gfx1200): v_pk_minimum3_f16
// GFX1250: v_pk_minimum3_f16 v8, v1, s1, v4        ; encoding: [0x08,0x40,0x36,0xcc,0x01,0x03,0x10,0x1c]

v_pk_minimum3_f16 v8, v1, s1, v4
// GFX12-ERR: :[[@LINE-1]]:1: error: instruction not supported on this GPU (gfx1200): v_pk_minimum3_f16
// GFX1250: v_pk_minimum3_f16 v8, v1, s1, v4        ; encoding: [0x08,0x40,0x36,0xcc,0x01,0x03,0x10,0x1c]
	;; [unrolled: 4-line block ×4, first 2 shown]

v_pk_minimum3_f16 v8, v1, s1, v4 op_sel_hi:[0,0,0]
// GFX12-ERR: :[[@LINE-1]]:1: error: instruction not supported on this GPU (gfx1200): v_pk_minimum3_f16
// GFX1250: v_pk_minimum3_f16 v8, v1, s1, v4 op_sel_hi:[0,0,0] ; encoding: [0x08,0x00,0x36,0xcc,0x01,0x03,0x10,0x04]

v_pk_minimum3_f16 v8, v1, s1, v4 op_sel:[0,0,1] op_sel_hi:[0,0,1]
// GFX12-ERR: :[[@LINE-1]]:1: error: instruction not supported on this GPU (gfx1200): v_pk_minimum3_f16
// GFX1250: v_pk_minimum3_f16 v8, v1, s1, v4 op_sel:[0,0,1] op_sel_hi:[0,0,1] ; encoding: [0x08,0x60,0x36,0xcc,0x01,0x03,0x10,0x04]

v_pk_minimum3_f16 v8, v1, s1, v4 neg_lo:[1,1,1]
// GFX12-ERR: :[[@LINE-1]]:1: error: instruction not supported on this GPU (gfx1200): v_pk_minimum3_f16
// GFX1250: v_pk_minimum3_f16 v8, v1, s1, v4 neg_lo:[1,1,1] ; encoding: [0x08,0x40,0x36,0xcc,0x01,0x03,0x10,0xfc]

v_pk_minimum3_f16 v8, v1, s1, v4 neg_hi:[1,1,1]
// GFX12-ERR: :[[@LINE-1]]:1: error: instruction not supported on this GPU (gfx1200): v_pk_minimum3_f16
// GFX1250: v_pk_minimum3_f16 v8, v1, s1, v4 neg_hi:[1,1,1] ; encoding: [0x08,0x47,0x36,0xcc,0x01,0x03,0x10,0x1c]

v_pk_minimum3_f16 v8, v1, s1, v4 neg_lo:[1,1,1] neg_hi:[1,1,1]
// GFX12-ERR: :[[@LINE-1]]:1: error: instruction not supported on this GPU (gfx1200): v_pk_minimum3_f16
// GFX1250: v_pk_minimum3_f16 v8, v1, s1, v4 neg_lo:[1,1,1] neg_hi:[1,1,1] ; encoding: [0x08,0x47,0x36,0xcc,0x01,0x03,0x10,0xfc]

v_pk_minimum3_f16 v8, v1, s1, v4 neg_lo:[1,0,0]
// GFX12-ERR: :[[@LINE-1]]:1: error: instruction not supported on this GPU (gfx1200): v_pk_minimum3_f16
// GFX1250: v_pk_minimum3_f16 v8, v1, s1, v4 neg_lo:[1,0,0] ; encoding: [0x08,0x40,0x36,0xcc,0x01,0x03,0x10,0x3c]

v_pk_minimum3_f16 v8, v1, s1, v4 neg_lo:[0,1,0]
// GFX12-ERR: :[[@LINE-1]]:1: error: instruction not supported on this GPU (gfx1200): v_pk_minimum3_f16
// GFX1250: v_pk_minimum3_f16 v8, v1, s1, v4 neg_lo:[0,1,0] ; encoding: [0x08,0x40,0x36,0xcc,0x01,0x03,0x10,0x5c]
	;; [unrolled: 4-line block ×3, first 2 shown]

v_pk_minimum3_f16 v8, v1, s1, v4 neg_hi:[1,0,0]
// GFX12-ERR: :[[@LINE-1]]:1: error: instruction not supported on this GPU (gfx1200): v_pk_minimum3_f16
// GFX1250: v_pk_minimum3_f16 v8, v1, s1, v4 neg_hi:[1,0,0] ; encoding: [0x08,0x41,0x36,0xcc,0x01,0x03,0x10,0x1c]

v_pk_minimum3_f16 v8, v1, s1, v4 neg_hi:[0,1,0]
// GFX12-ERR: :[[@LINE-1]]:1: error: instruction not supported on this GPU (gfx1200): v_pk_minimum3_f16
// GFX1250: v_pk_minimum3_f16 v8, v1, s1, v4 neg_hi:[0,1,0] ; encoding: [0x08,0x42,0x36,0xcc,0x01,0x03,0x10,0x1c]
	;; [unrolled: 4-line block ×3, first 2 shown]

v_pk_minimum3_f16 v8, v1, s1, v4 clamp
// GFX12-ERR: :[[@LINE-1]]:1: error: instruction not supported on this GPU (gfx1200): v_pk_minimum3_f16
// GFX1250: v_pk_minimum3_f16 v8, v1, s1, v4 clamp  ; encoding: [0x08,0xc0,0x36,0xcc,0x01,0x03,0x10,0x1c]

v_pk_minimum3_f16 v1, v4, v9, v16
// GFX12-ERR: :[[@LINE-1]]:1: error: instruction not supported on this GPU (gfx1200): v_pk_minimum3_f16
// GFX1250: v_pk_minimum3_f16 v1, v4, v9, v16       ; encoding: [0x01,0x40,0x36,0xcc,0x04,0x13,0x42,0x1c]

v_pk_minimum3_f16 v1, v2, v5, 1.0
// GFX12-ERR: :[[@LINE-1]]:1: error: instruction not supported on this GPU (gfx1200): v_pk_minimum3_f16
// GFX1250: v_pk_minimum3_f16 v1, v2, v5, 1.0       ; encoding: [0x01,0x40,0x36,0xcc,0x02,0x0b,0xca,0x1b]

v_pk_maximum3_f16 v8, v1, s1, v4
// GFX12-ERR: :[[@LINE-1]]:1: error: instruction not supported on this GPU (gfx1200): v_pk_maximum3_f16
// GFX1250: v_pk_maximum3_f16 v8, v1, s1, v4        ; encoding: [0x08,0x40,0x37,0xcc,0x01,0x03,0x10,0x1c]

v_pk_maximum3_f16 v8, v1, s1, v4
// GFX12-ERR: :[[@LINE-1]]:1: error: instruction not supported on this GPU (gfx1200): v_pk_maximum3_f16
// GFX1250: v_pk_maximum3_f16 v8, v1, s1, v4        ; encoding: [0x08,0x40,0x37,0xcc,0x01,0x03,0x10,0x1c]
	;; [unrolled: 4-line block ×4, first 2 shown]

v_pk_maximum3_f16 v8, v1, s1, v4 op_sel_hi:[0,0,0]
// GFX12-ERR: :[[@LINE-1]]:1: error: instruction not supported on this GPU (gfx1200): v_pk_maximum3_f16
// GFX1250: v_pk_maximum3_f16 v8, v1, s1, v4 op_sel_hi:[0,0,0] ; encoding: [0x08,0x00,0x37,0xcc,0x01,0x03,0x10,0x04]

v_pk_maximum3_f16 v8, v1, s1, v4 op_sel:[0,0,1] op_sel_hi:[0,0,1]
// GFX12-ERR: :[[@LINE-1]]:1: error: instruction not supported on this GPU (gfx1200): v_pk_maximum3_f16
// GFX1250: v_pk_maximum3_f16 v8, v1, s1, v4 op_sel:[0,0,1] op_sel_hi:[0,0,1] ; encoding: [0x08,0x60,0x37,0xcc,0x01,0x03,0x10,0x04]

v_pk_maximum3_f16 v8, v1, s1, v4 neg_lo:[1,1,1]
// GFX12-ERR: :[[@LINE-1]]:1: error: instruction not supported on this GPU (gfx1200): v_pk_maximum3_f16
// GFX1250: v_pk_maximum3_f16 v8, v1, s1, v4 neg_lo:[1,1,1] ; encoding: [0x08,0x40,0x37,0xcc,0x01,0x03,0x10,0xfc]

v_pk_maximum3_f16 v8, v1, s1, v4 neg_hi:[1,1,1]
// GFX12-ERR: :[[@LINE-1]]:1: error: instruction not supported on this GPU (gfx1200): v_pk_maximum3_f16
// GFX1250: v_pk_maximum3_f16 v8, v1, s1, v4 neg_hi:[1,1,1] ; encoding: [0x08,0x47,0x37,0xcc,0x01,0x03,0x10,0x1c]

v_pk_maximum3_f16 v8, v1, s1, v4 neg_lo:[1,1,1] neg_hi:[1,1,1]
// GFX12-ERR: :[[@LINE-1]]:1: error: instruction not supported on this GPU (gfx1200): v_pk_maximum3_f16
// GFX1250: v_pk_maximum3_f16 v8, v1, s1, v4 neg_lo:[1,1,1] neg_hi:[1,1,1] ; encoding: [0x08,0x47,0x37,0xcc,0x01,0x03,0x10,0xfc]

v_pk_maximum3_f16 v8, v1, s1, v4 neg_lo:[1,0,0]
// GFX12-ERR: :[[@LINE-1]]:1: error: instruction not supported on this GPU (gfx1200): v_pk_maximum3_f16
// GFX1250: v_pk_maximum3_f16 v8, v1, s1, v4 neg_lo:[1,0,0] ; encoding: [0x08,0x40,0x37,0xcc,0x01,0x03,0x10,0x3c]

v_pk_maximum3_f16 v8, v1, s1, v4 neg_lo:[0,1,0]
// GFX12-ERR: :[[@LINE-1]]:1: error: instruction not supported on this GPU (gfx1200): v_pk_maximum3_f16
// GFX1250: v_pk_maximum3_f16 v8, v1, s1, v4 neg_lo:[0,1,0] ; encoding: [0x08,0x40,0x37,0xcc,0x01,0x03,0x10,0x5c]
	;; [unrolled: 4-line block ×3, first 2 shown]

v_pk_maximum3_f16 v8, v1, s1, v4 neg_hi:[1,0,0]
// GFX12-ERR: :[[@LINE-1]]:1: error: instruction not supported on this GPU (gfx1200): v_pk_maximum3_f16
// GFX1250: v_pk_maximum3_f16 v8, v1, s1, v4 neg_hi:[1,0,0] ; encoding: [0x08,0x41,0x37,0xcc,0x01,0x03,0x10,0x1c]

v_pk_maximum3_f16 v8, v1, s1, v4 neg_hi:[0,1,0]
// GFX12-ERR: :[[@LINE-1]]:1: error: instruction not supported on this GPU (gfx1200): v_pk_maximum3_f16
// GFX1250: v_pk_maximum3_f16 v8, v1, s1, v4 neg_hi:[0,1,0] ; encoding: [0x08,0x42,0x37,0xcc,0x01,0x03,0x10,0x1c]
	;; [unrolled: 4-line block ×3, first 2 shown]

v_pk_maximum3_f16 v8, v1, s1, v4 clamp
// GFX12-ERR: :[[@LINE-1]]:1: error: instruction not supported on this GPU (gfx1200): v_pk_maximum3_f16
// GFX1250: v_pk_maximum3_f16 v8, v1, s1, v4 clamp  ; encoding: [0x08,0xc0,0x37,0xcc,0x01,0x03,0x10,0x1c]

v_pk_maximum3_f16 v1, v4, v9, v16
// GFX12-ERR: :[[@LINE-1]]:1: error: instruction not supported on this GPU (gfx1200): v_pk_maximum3_f16
// GFX1250: v_pk_maximum3_f16 v1, v4, v9, v16       ; encoding: [0x01,0x40,0x37,0xcc,0x04,0x13,0x42,0x1c]

v_pk_maximum3_f16 v1, v2, v5, 1.0
// GFX12-ERR: :[[@LINE-1]]:1: error: instruction not supported on this GPU (gfx1200): v_pk_maximum3_f16
// GFX1250: v_pk_maximum3_f16 v1, v2, v5, 1.0       ; encoding: [0x01,0x40,0x37,0xcc,0x02,0x0b,0xca,0x1b]

v_pk_min3_num_f16 v8, v1, s1, v4
// GFX12-ERR: :[[@LINE-1]]:1: error: instruction not supported on this GPU (gfx1200): v_pk_min3_num_f16
// GFX1250: v_pk_min3_num_f16 v8, v1, s1, v4        ; encoding: [0x08,0x40,0x38,0xcc,0x01,0x03,0x10,0x1c]

v_pk_min3_num_f16 v8, v1, s1, v4
// GFX12-ERR: :[[@LINE-1]]:1: error: instruction not supported on this GPU (gfx1200): v_pk_min3_num_f16
// GFX1250: v_pk_min3_num_f16 v8, v1, s1, v4        ; encoding: [0x08,0x40,0x38,0xcc,0x01,0x03,0x10,0x1c]
	;; [unrolled: 4-line block ×4, first 2 shown]

v_pk_min3_num_f16 v8, v1, s1, v4 op_sel_hi:[0,0,0]
// GFX12-ERR: :[[@LINE-1]]:1: error: instruction not supported on this GPU (gfx1200): v_pk_min3_num_f16
// GFX1250: v_pk_min3_num_f16 v8, v1, s1, v4 op_sel_hi:[0,0,0] ; encoding: [0x08,0x00,0x38,0xcc,0x01,0x03,0x10,0x04]

v_pk_min3_num_f16 v8, v1, s1, v4 op_sel:[0,0,1] op_sel_hi:[0,0,1]
// GFX12-ERR: :[[@LINE-1]]:1: error: instruction not supported on this GPU (gfx1200): v_pk_min3_num_f16
// GFX1250: v_pk_min3_num_f16 v8, v1, s1, v4 op_sel:[0,0,1] op_sel_hi:[0,0,1] ; encoding: [0x08,0x60,0x38,0xcc,0x01,0x03,0x10,0x04]

v_pk_min3_num_f16 v8, v1, s1, v4 neg_lo:[1,1,1]
// GFX12-ERR: :[[@LINE-1]]:1: error: instruction not supported on this GPU (gfx1200): v_pk_min3_num_f16
// GFX1250: v_pk_min3_num_f16 v8, v1, s1, v4 neg_lo:[1,1,1] ; encoding: [0x08,0x40,0x38,0xcc,0x01,0x03,0x10,0xfc]

v_pk_min3_num_f16 v8, v1, s1, v4 neg_hi:[1,1,1]
// GFX12-ERR: :[[@LINE-1]]:1: error: instruction not supported on this GPU (gfx1200): v_pk_min3_num_f16
// GFX1250: v_pk_min3_num_f16 v8, v1, s1, v4 neg_hi:[1,1,1] ; encoding: [0x08,0x47,0x38,0xcc,0x01,0x03,0x10,0x1c]

v_pk_min3_num_f16 v8, v1, s1, v4 neg_lo:[1,1,1] neg_hi:[1,1,1]
// GFX12-ERR: :[[@LINE-1]]:1: error: instruction not supported on this GPU (gfx1200): v_pk_min3_num_f16
// GFX1250: v_pk_min3_num_f16 v8, v1, s1, v4 neg_lo:[1,1,1] neg_hi:[1,1,1] ; encoding: [0x08,0x47,0x38,0xcc,0x01,0x03,0x10,0xfc]

v_pk_min3_num_f16 v8, v1, s1, v4 neg_lo:[1,0,0]
// GFX12-ERR: :[[@LINE-1]]:1: error: instruction not supported on this GPU (gfx1200): v_pk_min3_num_f16
// GFX1250: v_pk_min3_num_f16 v8, v1, s1, v4 neg_lo:[1,0,0] ; encoding: [0x08,0x40,0x38,0xcc,0x01,0x03,0x10,0x3c]

v_pk_min3_num_f16 v8, v1, s1, v4 neg_lo:[0,1,0]
// GFX12-ERR: :[[@LINE-1]]:1: error: instruction not supported on this GPU (gfx1200): v_pk_min3_num_f16
// GFX1250: v_pk_min3_num_f16 v8, v1, s1, v4 neg_lo:[0,1,0] ; encoding: [0x08,0x40,0x38,0xcc,0x01,0x03,0x10,0x5c]
	;; [unrolled: 4-line block ×3, first 2 shown]

v_pk_min3_num_f16 v8, v1, s1, v4 neg_hi:[1,0,0]
// GFX12-ERR: :[[@LINE-1]]:1: error: instruction not supported on this GPU (gfx1200): v_pk_min3_num_f16
// GFX1250: v_pk_min3_num_f16 v8, v1, s1, v4 neg_hi:[1,0,0] ; encoding: [0x08,0x41,0x38,0xcc,0x01,0x03,0x10,0x1c]

v_pk_min3_num_f16 v8, v1, s1, v4 neg_hi:[0,1,0]
// GFX12-ERR: :[[@LINE-1]]:1: error: instruction not supported on this GPU (gfx1200): v_pk_min3_num_f16
// GFX1250: v_pk_min3_num_f16 v8, v1, s1, v4 neg_hi:[0,1,0] ; encoding: [0x08,0x42,0x38,0xcc,0x01,0x03,0x10,0x1c]
	;; [unrolled: 4-line block ×3, first 2 shown]

v_pk_min3_num_f16 v8, v1, s1, v4 clamp
// GFX12-ERR: :[[@LINE-1]]:1: error: instruction not supported on this GPU (gfx1200): v_pk_min3_num_f16
// GFX1250: v_pk_min3_num_f16 v8, v1, s1, v4 clamp  ; encoding: [0x08,0xc0,0x38,0xcc,0x01,0x03,0x10,0x1c]

v_pk_min3_num_f16 v1, v4, v9, v16
// GFX12-ERR: :[[@LINE-1]]:1: error: instruction not supported on this GPU (gfx1200): v_pk_min3_num_f16
// GFX1250: v_pk_min3_num_f16 v1, v4, v9, v16       ; encoding: [0x01,0x40,0x38,0xcc,0x04,0x13,0x42,0x1c]

v_pk_min3_num_f16 v1, v2, v5, 1.0
// GFX12-ERR: :[[@LINE-1]]:1: error: instruction not supported on this GPU (gfx1200): v_pk_min3_num_f16
// GFX1250: v_pk_min3_num_f16 v1, v2, v5, 1.0       ; encoding: [0x01,0x40,0x38,0xcc,0x02,0x0b,0xca,0x1b]

v_pk_max3_num_f16 v8, v1, s1, v4
// GFX12-ERR: :[[@LINE-1]]:1: error: instruction not supported on this GPU (gfx1200): v_pk_max3_num_f16
// GFX1250: v_pk_max3_num_f16 v8, v1, s1, v4        ; encoding: [0x08,0x40,0x39,0xcc,0x01,0x03,0x10,0x1c]

v_pk_max3_num_f16 v8, v1, s1, v4
// GFX12-ERR: :[[@LINE-1]]:1: error: instruction not supported on this GPU (gfx1200): v_pk_max3_num_f16
// GFX1250: v_pk_max3_num_f16 v8, v1, s1, v4        ; encoding: [0x08,0x40,0x39,0xcc,0x01,0x03,0x10,0x1c]
	;; [unrolled: 4-line block ×4, first 2 shown]

v_pk_max3_num_f16 v8, v1, s1, v4 op_sel_hi:[0,0,0]
// GFX12-ERR: :[[@LINE-1]]:1: error: instruction not supported on this GPU (gfx1200): v_pk_max3_num_f16
// GFX1250: v_pk_max3_num_f16 v8, v1, s1, v4 op_sel_hi:[0,0,0] ; encoding: [0x08,0x00,0x39,0xcc,0x01,0x03,0x10,0x04]

v_pk_max3_num_f16 v8, v1, s1, v4 op_sel:[0,0,1] op_sel_hi:[0,0,1]
// GFX12-ERR: :[[@LINE-1]]:1: error: instruction not supported on this GPU (gfx1200): v_pk_max3_num_f16
// GFX1250: v_pk_max3_num_f16 v8, v1, s1, v4 op_sel:[0,0,1] op_sel_hi:[0,0,1] ; encoding: [0x08,0x60,0x39,0xcc,0x01,0x03,0x10,0x04]

v_pk_max3_num_f16 v8, v1, s1, v4 neg_lo:[1,1,1]
// GFX12-ERR: :[[@LINE-1]]:1: error: instruction not supported on this GPU (gfx1200): v_pk_max3_num_f16
// GFX1250: v_pk_max3_num_f16 v8, v1, s1, v4 neg_lo:[1,1,1] ; encoding: [0x08,0x40,0x39,0xcc,0x01,0x03,0x10,0xfc]

v_pk_max3_num_f16 v8, v1, s1, v4 neg_hi:[1,1,1]
// GFX12-ERR: :[[@LINE-1]]:1: error: instruction not supported on this GPU (gfx1200): v_pk_max3_num_f16
// GFX1250: v_pk_max3_num_f16 v8, v1, s1, v4 neg_hi:[1,1,1] ; encoding: [0x08,0x47,0x39,0xcc,0x01,0x03,0x10,0x1c]

v_pk_max3_num_f16 v8, v1, s1, v4 neg_lo:[1,1,1] neg_hi:[1,1,1]
// GFX12-ERR: :[[@LINE-1]]:1: error: instruction not supported on this GPU (gfx1200): v_pk_max3_num_f16
// GFX1250: v_pk_max3_num_f16 v8, v1, s1, v4 neg_lo:[1,1,1] neg_hi:[1,1,1] ; encoding: [0x08,0x47,0x39,0xcc,0x01,0x03,0x10,0xfc]

v_pk_max3_num_f16 v8, v1, s1, v4 neg_lo:[1,0,0]
// GFX12-ERR: :[[@LINE-1]]:1: error: instruction not supported on this GPU (gfx1200): v_pk_max3_num_f16
// GFX1250: v_pk_max3_num_f16 v8, v1, s1, v4 neg_lo:[1,0,0] ; encoding: [0x08,0x40,0x39,0xcc,0x01,0x03,0x10,0x3c]

v_pk_max3_num_f16 v8, v1, s1, v4 neg_lo:[0,1,0]
// GFX12-ERR: :[[@LINE-1]]:1: error: instruction not supported on this GPU (gfx1200): v_pk_max3_num_f16
// GFX1250: v_pk_max3_num_f16 v8, v1, s1, v4 neg_lo:[0,1,0] ; encoding: [0x08,0x40,0x39,0xcc,0x01,0x03,0x10,0x5c]
	;; [unrolled: 4-line block ×3, first 2 shown]

v_pk_max3_num_f16 v8, v1, s1, v4 neg_hi:[1,0,0]
// GFX12-ERR: :[[@LINE-1]]:1: error: instruction not supported on this GPU (gfx1200): v_pk_max3_num_f16
// GFX1250: v_pk_max3_num_f16 v8, v1, s1, v4 neg_hi:[1,0,0] ; encoding: [0x08,0x41,0x39,0xcc,0x01,0x03,0x10,0x1c]

v_pk_max3_num_f16 v8, v1, s1, v4 neg_hi:[0,1,0]
// GFX12-ERR: :[[@LINE-1]]:1: error: instruction not supported on this GPU (gfx1200): v_pk_max3_num_f16
// GFX1250: v_pk_max3_num_f16 v8, v1, s1, v4 neg_hi:[0,1,0] ; encoding: [0x08,0x42,0x39,0xcc,0x01,0x03,0x10,0x1c]
	;; [unrolled: 4-line block ×3, first 2 shown]

v_pk_max3_num_f16 v8, v1, s1, v4 clamp
// GFX12-ERR: :[[@LINE-1]]:1: error: instruction not supported on this GPU (gfx1200): v_pk_max3_num_f16
// GFX1250: v_pk_max3_num_f16 v8, v1, s1, v4 clamp  ; encoding: [0x08,0xc0,0x39,0xcc,0x01,0x03,0x10,0x1c]

v_pk_max3_num_f16 v1, v4, v9, v16
// GFX12-ERR: :[[@LINE-1]]:1: error: instruction not supported on this GPU (gfx1200): v_pk_max3_num_f16
// GFX1250: v_pk_max3_num_f16 v1, v4, v9, v16       ; encoding: [0x01,0x40,0x39,0xcc,0x04,0x13,0x42,0x1c]

v_pk_max3_num_f16 v1, v2, v5, 1.0
// GFX12-ERR: :[[@LINE-1]]:1: error: instruction not supported on this GPU (gfx1200): v_pk_max3_num_f16
// GFX1250: v_pk_max3_num_f16 v1, v2, v5, 1.0       ; encoding: [0x01,0x40,0x39,0xcc,0x02,0x0b,0xca,0x1b]

v_fma_mix_f32_bf16 v5, v1, v2, s3
// GFX12-ERR: :[[@LINE-1]]:1: error: instruction not supported on this GPU (gfx1200): v_fma_mix_f32_bf16
// GFX1250: v_fma_mix_f32_bf16 v5, v1, v2, s3       ; encoding: [0x05,0x00,0x3d,0xcc,0x01,0x05,0x0e,0x00]

v_fma_mix_f32_bf16 v5, v255, v255, s105
// GFX12-ERR: :[[@LINE-1]]:1: error: instruction not supported on this GPU (gfx1200): v_fma_mix_f32_bf16
// GFX1250: v_fma_mix_f32_bf16 v5, v255, v255, s105 ; encoding: [0x05,0x00,0x3d,0xcc,0xff,0xff,0xa7,0x01]

v_fma_mix_f32_bf16 v5, s1, s2, v3
// GFX12-ERR: :[[@LINE-1]]:1: error: instruction not supported on this GPU (gfx1200): v_fma_mix_f32_bf16
// GFX1250: v_fma_mix_f32_bf16 v5, s1, s2, v3       ; encoding: [0x05,0x00,0x3d,0xcc,0x01,0x04,0x0c,0x04]

v_fma_mix_f32_bf16 v5, s105, s105, m0
// GFX12-ERR: :[[@LINE-1]]:1: error: instruction not supported on this GPU (gfx1200): v_fma_mix_f32_bf16
// GFX1250: v_fma_mix_f32_bf16 v5, s105, s105, m0   ; encoding: [0x05,0x00,0x3d,0xcc,0x69,0xd2,0xf4,0x01]

v_fma_mix_f32_bf16 v5, vcc_lo, ttmp15, ttmp15
// GFX12-ERR: :[[@LINE-1]]:1: error: instruction not supported on this GPU (gfx1200): v_fma_mix_f32_bf16
// GFX1250: v_fma_mix_f32_bf16 v5, vcc_lo, ttmp15, ttmp15 ; encoding: [0x05,0x00,0x3d,0xcc,0x6a,0xf6,0xec,0x01]

v_fma_mix_f32_bf16 v5, vcc_hi, src_scc, v255
// GFX12-ERR: :[[@LINE-1]]:1: error: instruction not supported on this GPU (gfx1200): v_fma_mix_f32_bf16
// GFX1250: v_fma_mix_f32_bf16 v5, vcc_hi, src_scc, v255 ; encoding: [0x05,0x00,0x3d,0xcc,0x6b,0xfa,0xfd,0x07]

v_fma_mix_f32_bf16 v5, |ttmp15|, 0.5, -vcc_hi
// GFX12-ERR: :[[@LINE-1]]:1: error: instruction not supported on this GPU (gfx1200): v_fma_mix_f32_bf16
// GFX1250: v_fma_mix_f32_bf16 v5, |ttmp15|, 0.5, -vcc_hi ; encoding: [0x05,0x01,0x3d,0xcc,0x7b,0xe0,0xad,0x81]

v_fma_mix_f32_bf16 v5, -m0, -1, |vcc_lo|
// GFX12-ERR: :[[@LINE-1]]:1: error: instruction not supported on this GPU (gfx1200): v_fma_mix_f32_bf16
// GFX1250: v_fma_mix_f32_bf16 v5, -m0, -1, |vcc_lo| ; encoding: [0x05,0x04,0x3d,0xcc,0x7d,0x82,0xa9,0x21]

v_fma_mix_f32_bf16 v5, -|exec_lo|, null, -|src_scc|
// GFX12-ERR: :[[@LINE-1]]:1: error: instruction not supported on this GPU (gfx1200): v_fma_mix_f32_bf16
// GFX1250: v_fma_mix_f32_bf16 v5, -|exec_lo|, null, -|src_scc| ; encoding: [0x05,0x05,0x3d,0xcc,0x7e,0xf8,0xf4,0xa3]

v_fma_mix_f32_bf16 v5, -|exec_hi|, -|exec_lo|, -|exec_lo| op_sel:[1,1,1] op_sel_hi:[1,1,1]
// GFX12-ERR: :[[@LINE-1]]:1: error: instruction not supported on this GPU (gfx1200): v_fma_mix_f32_bf16
// GFX1250: v_fma_mix_f32_bf16 v5, -|exec_hi|, -|exec_lo|, -|exec_lo| op_sel:[1,1,1] op_sel_hi:[1,1,1] ; encoding: [0x05,0x7f,0x3d,0xcc,0x7f,0xfc,0xf8,0xf9]

v_fma_mix_f32_bf16 v5, null, exec_hi, 0.5 op_sel:[0,0,0] op_sel_hi:[0,0,1]
// GFX12-ERR: :[[@LINE-1]]:1: error: instruction not supported on this GPU (gfx1200): v_fma_mix_f32_bf16
// GFX1250: v_fma_mix_f32_bf16 v5, null, exec_hi, 0.5 op_sel_hi:[0,0,1] ; encoding: [0x05,0x40,0x3d,0xcc,0x7c,0xfe,0xc0,0x03]

v_fma_mix_f32_bf16 v5, -1, -|m0|, -1 op_sel:[1,0,0] op_sel_hi:[0,1,0]
// GFX12-ERR: :[[@LINE-1]]:1: error: instruction not supported on this GPU (gfx1200): v_fma_mix_f32_bf16
// GFX1250: v_fma_mix_f32_bf16 v5, -1, -|m0|, -1 op_sel:[1,0,0] op_sel_hi:[0,1,0] ; encoding: [0x05,0x0a,0x3d,0xcc,0xc1,0xfa,0x04,0x53]

v_fma_mix_f32_bf16 v5, 0.5, -|vcc_lo|, -|exec_hi| op_sel:[0,1,0] op_sel_hi:[1,0,0]
// GFX12-ERR: :[[@LINE-1]]:1: error: instruction not supported on this GPU (gfx1200): v_fma_mix_f32_bf16
// GFX1250: v_fma_mix_f32_bf16 v5, 0.5, -|vcc_lo|, -|exec_hi| op_sel:[0,1,0] op_sel_hi:[1,0,0] ; encoding: [0x05,0x16,0x3d,0xcc,0xf0,0xd4,0xfc,0xc9]

v_fma_mix_f32_bf16 v255, -|src_scc|, -|vcc_hi|, null op_sel:[0,0,1] op_sel_hi:[0,0,0] clamp
// GFX12-ERR: :[[@LINE-1]]:1: error: instruction not supported on this GPU (gfx1200): v_fma_mix_f32_bf16
// GFX1250: v_fma_mix_f32_bf16 v255, -|src_scc|, -|vcc_hi|, null op_sel:[0,0,1] clamp ; encoding: [0xff,0xa3,0x3d,0xcc,0xfd,0xd6,0xf0,0x61]

v_fma_mixlo_bf16 v5, v1, v2, s3
// GFX12-ERR: :[[@LINE-1]]:1: error: instruction not supported on this GPU (gfx1200): v_fma_mixlo_bf16
// GFX1250: v_fma_mixlo_bf16 v5, v1, v2, s3         ; encoding: [0x05,0x00,0x3e,0xcc,0x01,0x05,0x0e,0x00]

v_fma_mixlo_bf16 v5, v255, v255, s105
// GFX12-ERR: :[[@LINE-1]]:1: error: instruction not supported on this GPU (gfx1200): v_fma_mixlo_bf16
// GFX1250: v_fma_mixlo_bf16 v5, v255, v255, s105   ; encoding: [0x05,0x00,0x3e,0xcc,0xff,0xff,0xa7,0x01]

v_fma_mixlo_bf16 v5, s1, s2, v3
// GFX12-ERR: :[[@LINE-1]]:1: error: instruction not supported on this GPU (gfx1200): v_fma_mixlo_bf16
// GFX1250: v_fma_mixlo_bf16 v5, s1, s2, v3         ; encoding: [0x05,0x00,0x3e,0xcc,0x01,0x04,0x0c,0x04]

v_fma_mixlo_bf16 v5, s105, s105, m0
// GFX12-ERR: :[[@LINE-1]]:1: error: instruction not supported on this GPU (gfx1200): v_fma_mixlo_bf16
// GFX1250: v_fma_mixlo_bf16 v5, s105, s105, m0     ; encoding: [0x05,0x00,0x3e,0xcc,0x69,0xd2,0xf4,0x01]

v_fma_mixlo_bf16 v5, vcc_lo, ttmp15, ttmp15
// GFX12-ERR: :[[@LINE-1]]:1: error: instruction not supported on this GPU (gfx1200): v_fma_mixlo_bf16
// GFX1250: v_fma_mixlo_bf16 v5, vcc_lo, ttmp15, ttmp15 ; encoding: [0x05,0x00,0x3e,0xcc,0x6a,0xf6,0xec,0x01]

v_fma_mixlo_bf16 v5, vcc_hi, src_scc, v255
// GFX12-ERR: :[[@LINE-1]]:1: error: instruction not supported on this GPU (gfx1200): v_fma_mixlo_bf16
// GFX1250: v_fma_mixlo_bf16 v5, vcc_hi, src_scc, v255 ; encoding: [0x05,0x00,0x3e,0xcc,0x6b,0xfa,0xfd,0x07]

v_fma_mixlo_bf16 v5, |ttmp15|, 0.5, -vcc_hi
// GFX12-ERR: :[[@LINE-1]]:1: error: instruction not supported on this GPU (gfx1200): v_fma_mixlo_bf16
// GFX1250: v_fma_mixlo_bf16 v5, |ttmp15|, 0.5, -vcc_hi ; encoding: [0x05,0x01,0x3e,0xcc,0x7b,0xe0,0xad,0x81]

v_fma_mixlo_bf16 v5, -m0, -1, |vcc_lo|
// GFX12-ERR: :[[@LINE-1]]:1: error: instruction not supported on this GPU (gfx1200): v_fma_mixlo_bf16
// GFX1250: v_fma_mixlo_bf16 v5, -m0, -1, |vcc_lo|  ; encoding: [0x05,0x04,0x3e,0xcc,0x7d,0x82,0xa9,0x21]

v_fma_mixlo_bf16 v5, -|exec_lo|, null, -|src_scc|
// GFX12-ERR: :[[@LINE-1]]:1: error: instruction not supported on this GPU (gfx1200): v_fma_mixlo_bf16
// GFX1250: v_fma_mixlo_bf16 v5, -|exec_lo|, null, -|src_scc| ; encoding: [0x05,0x05,0x3e,0xcc,0x7e,0xf8,0xf4,0xa3]

v_fma_mixlo_bf16 v5, -|exec_hi|, -|exec_lo|, -|exec_lo| op_sel:[1,1,1] op_sel_hi:[1,1,1]
// GFX12-ERR: :[[@LINE-1]]:1: error: instruction not supported on this GPU (gfx1200): v_fma_mixlo_bf16
// GFX1250: v_fma_mixlo_bf16 v5, -|exec_hi|, -|exec_lo|, -|exec_lo| op_sel:[1,1,1] op_sel_hi:[1,1,1] ; encoding: [0x05,0x7f,0x3e,0xcc,0x7f,0xfc,0xf8,0xf9]

v_fma_mixlo_bf16 v5, null, exec_hi, 0.5 op_sel:[0,0,0] op_sel_hi:[0,0,1]
// GFX12-ERR: :[[@LINE-1]]:1: error: instruction not supported on this GPU (gfx1200): v_fma_mixlo_bf16
// GFX1250: v_fma_mixlo_bf16 v5, null, exec_hi, 0.5 op_sel_hi:[0,0,1] ; encoding: [0x05,0x40,0x3e,0xcc,0x7c,0xfe,0xc0,0x03]

v_fma_mixlo_bf16 v5, -1, -|m0|, -1 op_sel:[1,0,0] op_sel_hi:[0,1,0]
// GFX12-ERR: :[[@LINE-1]]:1: error: instruction not supported on this GPU (gfx1200): v_fma_mixlo_bf16
// GFX1250: v_fma_mixlo_bf16 v5, -1, -|m0|, -1 op_sel:[1,0,0] op_sel_hi:[0,1,0] ; encoding: [0x05,0x0a,0x3e,0xcc,0xc1,0xfa,0x04,0x53]

v_fma_mixlo_bf16 v5, 0.5, -|vcc_lo|, -|exec_hi| op_sel:[0,1,0] op_sel_hi:[1,0,0]
// GFX12-ERR: :[[@LINE-1]]:1: error: instruction not supported on this GPU (gfx1200): v_fma_mixlo_bf16
// GFX1250: v_fma_mixlo_bf16 v5, 0.5, -|vcc_lo|, -|exec_hi| op_sel:[0,1,0] op_sel_hi:[1,0,0] ; encoding: [0x05,0x16,0x3e,0xcc,0xf0,0xd4,0xfc,0xc9]

v_fma_mixlo_bf16 v255, -|src_scc|, -|vcc_hi|, null op_sel:[0,0,1] op_sel_hi:[0,0,0] clamp
// GFX12-ERR: :[[@LINE-1]]:1: error: instruction not supported on this GPU (gfx1200): v_fma_mixlo_bf16
// GFX1250: v_fma_mixlo_bf16 v255, -|src_scc|, -|vcc_hi|, null op_sel:[0,0,1] clamp ; encoding: [0xff,0xa3,0x3e,0xcc,0xfd,0xd6,0xf0,0x61]

v_fma_mixhi_bf16 v5, v1, v2, s3
// GFX12-ERR: :[[@LINE-1]]:1: error: instruction not supported on this GPU (gfx1200): v_fma_mixhi_bf16
// GFX1250: v_fma_mixhi_bf16 v5, v1, v2, s3         ; encoding: [0x05,0x00,0x3f,0xcc,0x01,0x05,0x0e,0x00]

v_fma_mixhi_bf16 v5, v255, v255, s105
// GFX12-ERR: :[[@LINE-1]]:1: error: instruction not supported on this GPU (gfx1200): v_fma_mixhi_bf16
// GFX1250: v_fma_mixhi_bf16 v5, v255, v255, s105   ; encoding: [0x05,0x00,0x3f,0xcc,0xff,0xff,0xa7,0x01]

v_fma_mixhi_bf16 v5, s1, s2, v3
// GFX12-ERR: :[[@LINE-1]]:1: error: instruction not supported on this GPU (gfx1200): v_fma_mixhi_bf16
// GFX1250: v_fma_mixhi_bf16 v5, s1, s2, v3         ; encoding: [0x05,0x00,0x3f,0xcc,0x01,0x04,0x0c,0x04]

v_fma_mixhi_bf16 v5, s105, s105, m0
// GFX12-ERR: :[[@LINE-1]]:1: error: instruction not supported on this GPU (gfx1200): v_fma_mixhi_bf16
// GFX1250: v_fma_mixhi_bf16 v5, s105, s105, m0     ; encoding: [0x05,0x00,0x3f,0xcc,0x69,0xd2,0xf4,0x01]

v_fma_mixhi_bf16 v5, vcc_lo, ttmp15, ttmp15
// GFX12-ERR: :[[@LINE-1]]:1: error: instruction not supported on this GPU (gfx1200): v_fma_mixhi_bf16
// GFX1250: v_fma_mixhi_bf16 v5, vcc_lo, ttmp15, ttmp15 ; encoding: [0x05,0x00,0x3f,0xcc,0x6a,0xf6,0xec,0x01]

v_fma_mixhi_bf16 v5, vcc_hi, src_scc, v255
// GFX12-ERR: :[[@LINE-1]]:1: error: instruction not supported on this GPU (gfx1200): v_fma_mixhi_bf16
// GFX1250: v_fma_mixhi_bf16 v5, vcc_hi, src_scc, v255 ; encoding: [0x05,0x00,0x3f,0xcc,0x6b,0xfa,0xfd,0x07]

v_fma_mixhi_bf16 v5, |ttmp15|, 0.5, -vcc_hi
// GFX12-ERR: :[[@LINE-1]]:1: error: instruction not supported on this GPU (gfx1200): v_fma_mixhi_bf16
// GFX1250: v_fma_mixhi_bf16 v5, |ttmp15|, 0.5, -vcc_hi ; encoding: [0x05,0x01,0x3f,0xcc,0x7b,0xe0,0xad,0x81]

v_fma_mixhi_bf16 v5, -m0, -1, |vcc_lo|
// GFX12-ERR: :[[@LINE-1]]:1: error: instruction not supported on this GPU (gfx1200): v_fma_mixhi_bf16
// GFX1250: v_fma_mixhi_bf16 v5, -m0, -1, |vcc_lo|  ; encoding: [0x05,0x04,0x3f,0xcc,0x7d,0x82,0xa9,0x21]

v_fma_mixhi_bf16 v5, -|exec_lo|, null, -|src_scc|
// GFX12-ERR: :[[@LINE-1]]:1: error: instruction not supported on this GPU (gfx1200): v_fma_mixhi_bf16
// GFX1250: v_fma_mixhi_bf16 v5, -|exec_lo|, null, -|src_scc| ; encoding: [0x05,0x05,0x3f,0xcc,0x7e,0xf8,0xf4,0xa3]

v_fma_mixhi_bf16 v5, -|exec_hi|, -|exec_lo|, -|exec_lo| op_sel:[1,1,1] op_sel_hi:[1,1,1]
// GFX12-ERR: :[[@LINE-1]]:1: error: instruction not supported on this GPU (gfx1200): v_fma_mixhi_bf16
// GFX1250: v_fma_mixhi_bf16 v5, -|exec_hi|, -|exec_lo|, -|exec_lo| op_sel:[1,1,1] op_sel_hi:[1,1,1] ; encoding: [0x05,0x7f,0x3f,0xcc,0x7f,0xfc,0xf8,0xf9]

v_fma_mixhi_bf16 v5, null, exec_hi, 0.5 op_sel:[0,0,0] op_sel_hi:[0,0,1]
// GFX12-ERR: :[[@LINE-1]]:1: error: instruction not supported on this GPU (gfx1200): v_fma_mixhi_bf16
// GFX1250: v_fma_mixhi_bf16 v5, null, exec_hi, 0.5 op_sel_hi:[0,0,1] ; encoding: [0x05,0x40,0x3f,0xcc,0x7c,0xfe,0xc0,0x03]

v_fma_mixhi_bf16 v5, -1, -|m0|, -1 op_sel:[1,0,0] op_sel_hi:[0,1,0]
// GFX12-ERR: :[[@LINE-1]]:1: error: instruction not supported on this GPU (gfx1200): v_fma_mixhi_bf16
// GFX1250: v_fma_mixhi_bf16 v5, -1, -|m0|, -1 op_sel:[1,0,0] op_sel_hi:[0,1,0] ; encoding: [0x05,0x0a,0x3f,0xcc,0xc1,0xfa,0x04,0x53]

v_fma_mixhi_bf16 v5, 0.5, -|vcc_lo|, -|exec_hi| op_sel:[0,1,0] op_sel_hi:[1,0,0]
// GFX12-ERR: :[[@LINE-1]]:1: error: instruction not supported on this GPU (gfx1200): v_fma_mixhi_bf16
// GFX1250: v_fma_mixhi_bf16 v5, 0.5, -|vcc_lo|, -|exec_hi| op_sel:[0,1,0] op_sel_hi:[1,0,0] ; encoding: [0x05,0x16,0x3f,0xcc,0xf0,0xd4,0xfc,0xc9]

v_fma_mixhi_bf16 v255, -|src_scc|, -|vcc_hi|, null op_sel:[0,0,1] op_sel_hi:[0,0,0] clamp
// GFX12-ERR: :[[@LINE-1]]:1: error: instruction not supported on this GPU (gfx1200): v_fma_mixhi_bf16
// GFX1250: v_fma_mixhi_bf16 v255, -|src_scc|, -|vcc_hi|, null op_sel:[0,0,1] clamp ; encoding: [0xff,0xa3,0x3f,0xcc,0xfd,0xd6,0xf0,0x61]
